;; amdgpu-corpus repo=ROCm/rocFFT kind=compiled arch=gfx1201 opt=O3
	.text
	.amdgcn_target "amdgcn-amd-amdhsa--gfx1201"
	.amdhsa_code_object_version 6
	.protected	bluestein_single_back_len910_dim1_sp_op_CI_CI ; -- Begin function bluestein_single_back_len910_dim1_sp_op_CI_CI
	.globl	bluestein_single_back_len910_dim1_sp_op_CI_CI
	.p2align	8
	.type	bluestein_single_back_len910_dim1_sp_op_CI_CI,@function
bluestein_single_back_len910_dim1_sp_op_CI_CI: ; @bluestein_single_back_len910_dim1_sp_op_CI_CI
; %bb.0:
	s_load_b128 s[8:11], s[0:1], 0x28
	v_mul_u32_u24_e32 v1, 0x2d1, v0
	v_mov_b32_e32 v67, 0
	s_mov_b32 s2, exec_lo
	s_delay_alu instid0(VALU_DEP_2) | instskip(NEXT) | instid1(VALU_DEP_1)
	v_lshrrev_b32_e32 v1, 16, v1
	v_lshl_add_u32 v66, ttmp9, 1, v1
	s_wait_kmcnt 0x0
	s_delay_alu instid0(VALU_DEP_1)
	v_cmpx_gt_u64_e64 s[8:9], v[66:67]
	s_cbranch_execz .LBB0_23
; %bb.1:
	v_mul_lo_u16 v2, 0x5b, v1
	s_clause 0x1
	s_load_b64 s[8:9], s[0:1], 0x0
	s_load_b64 s[12:13], s[0:1], 0x38
	v_and_b32_e32 v1, 1, v1
	v_sub_nc_u16 v0, v0, v2
	s_delay_alu instid0(VALU_DEP_2) | instskip(NEXT) | instid1(VALU_DEP_2)
	v_cmp_eq_u32_e32 vcc_lo, 1, v1
	v_and_b32_e32 v86, 0xffff, v0
	v_cndmask_b32_e64 v54, 0, 0x38e, vcc_lo
	v_cmp_gt_u16_e32 vcc_lo, 0x46, v0
	s_delay_alu instid0(VALU_DEP_3) | instskip(NEXT) | instid1(VALU_DEP_3)
	v_lshlrev_b32_e32 v85, 3, v86
	v_lshlrev_b32_e32 v87, 3, v54
	s_and_saveexec_b32 s3, vcc_lo
	s_cbranch_execz .LBB0_3
; %bb.2:
	s_load_b64 s[4:5], s[0:1], 0x18
	s_delay_alu instid0(VALU_DEP_1) | instskip(SKIP_1) | instid1(VALU_DEP_2)
	v_add_nc_u32_e32 v55, v87, v85
	v_lshl_add_u32 v56, v86, 3, v87
	v_add_nc_u32_e32 v58, 0x800, v55
	s_wait_kmcnt 0x0
	s_load_b128 s[4:7], s[4:5], 0x0
	s_wait_kmcnt 0x0
	v_mad_co_u64_u32 v[0:1], null, s6, v66, 0
	v_mad_co_u64_u32 v[2:3], null, s4, v86, 0
	s_delay_alu instid0(VALU_DEP_1) | instskip(NEXT) | instid1(VALU_DEP_1)
	v_mad_co_u64_u32 v[4:5], null, s7, v66, v[1:2]
	v_mad_co_u64_u32 v[5:6], null, s5, v86, v[3:4]
	v_mov_b32_e32 v1, v4
	s_mul_u64 s[4:5], s[4:5], 0x230
	s_delay_alu instid0(VALU_DEP_1) | instskip(NEXT) | instid1(VALU_DEP_3)
	v_lshlrev_b64_e32 v[0:1], 3, v[0:1]
	v_mov_b32_e32 v3, v5
	s_delay_alu instid0(VALU_DEP_2) | instskip(NEXT) | instid1(VALU_DEP_2)
	v_add_co_u32 v10, s2, s10, v0
	v_lshlrev_b64_e32 v[2:3], 3, v[2:3]
	s_delay_alu instid0(VALU_DEP_4)
	v_add_co_ci_u32_e64 v11, s2, s11, v1, s2
	s_clause 0xa
	global_load_b64 v[0:1], v85, s[8:9]
	global_load_b64 v[4:5], v85, s[8:9] offset:560
	global_load_b64 v[6:7], v85, s[8:9] offset:1120
	global_load_b64 v[8:9], v85, s[8:9] offset:1680
	global_load_b64 v[12:13], v85, s[8:9] offset:2240
	global_load_b64 v[14:15], v85, s[8:9] offset:2800
	global_load_b64 v[16:17], v85, s[8:9] offset:3360
	global_load_b64 v[18:19], v85, s[8:9] offset:3920
	global_load_b64 v[22:23], v85, s[8:9] offset:4480
	global_load_b64 v[24:25], v85, s[8:9] offset:5040
	global_load_b64 v[26:27], v85, s[8:9] offset:5600
	v_add_co_u32 v2, s2, v10, v2
	s_wait_alu 0xf1ff
	v_add_co_ci_u32_e64 v3, s2, v11, v3, s2
	s_wait_alu 0xfffe
	s_delay_alu instid0(VALU_DEP_2) | instskip(SKIP_1) | instid1(VALU_DEP_2)
	v_add_co_u32 v10, s2, v2, s4
	s_wait_alu 0xf1ff
	v_add_co_ci_u32_e64 v11, s2, s5, v3, s2
	global_load_b64 v[2:3], v[2:3], off
	v_add_co_u32 v20, s2, v10, s4
	s_wait_alu 0xf1ff
	v_add_co_ci_u32_e64 v21, s2, s5, v11, s2
	s_delay_alu instid0(VALU_DEP_2) | instskip(SKIP_1) | instid1(VALU_DEP_2)
	v_add_co_u32 v28, s2, v20, s4
	s_wait_alu 0xf1ff
	v_add_co_ci_u32_e64 v29, s2, s5, v21, s2
	s_delay_alu instid0(VALU_DEP_2) | instskip(SKIP_1) | instid1(VALU_DEP_2)
	v_add_co_u32 v30, s2, v28, s4
	s_wait_alu 0xf1ff
	v_add_co_ci_u32_e64 v31, s2, s5, v29, s2
	s_clause 0x2
	global_load_b64 v[10:11], v[10:11], off
	global_load_b64 v[20:21], v[20:21], off
	global_load_b64 v[28:29], v[28:29], off
	v_add_co_u32 v32, s2, v30, s4
	s_wait_alu 0xf1ff
	v_add_co_ci_u32_e64 v33, s2, s5, v31, s2
	global_load_b64 v[30:31], v[30:31], off
	v_add_co_u32 v34, s2, v32, s4
	s_wait_alu 0xf1ff
	v_add_co_ci_u32_e64 v35, s2, s5, v33, s2
	global_load_b64 v[32:33], v[32:33], off
	;; [unrolled: 4-line block ×7, first 2 shown]
	v_add_co_u32 v46, s2, v44, s4
	s_wait_alu 0xf1ff
	v_add_co_ci_u32_e64 v47, s2, s5, v45, s2
	global_load_b64 v[48:49], v85, s[8:9] offset:6160
	global_load_b64 v[44:45], v[44:45], off
	global_load_b64 v[50:51], v85, s[8:9] offset:6720
	global_load_b64 v[46:47], v[46:47], off
	s_wait_loadcnt 0xe
	v_mul_f32_e32 v52, v3, v1
	v_mul_f32_e32 v53, v2, v1
	s_delay_alu instid0(VALU_DEP_2) | instskip(NEXT) | instid1(VALU_DEP_2)
	v_fmac_f32_e32 v52, v2, v0
	v_fma_f32 v53, v3, v0, -v53
	ds_store_b64 v56, v[52:53]
	s_wait_loadcnt 0xd
	v_mul_f32_e32 v1, v11, v5
	v_mul_f32_e32 v2, v10, v5
	s_wait_loadcnt 0xb
	v_mul_f32_e32 v0, v29, v9
	v_mul_f32_e32 v5, v21, v7
	;; [unrolled: 1-line block ×3, first 2 shown]
	v_fmac_f32_e32 v1, v10, v4
	v_mul_f32_e32 v3, v28, v9
	v_dual_fmac_f32 v0, v28, v8 :: v_dual_add_nc_u32 v59, 0xc00, v55
	v_fma_f32 v2, v11, v4, -v2
	v_fmac_f32_e32 v5, v20, v6
	v_fma_f32 v6, v21, v6, -v7
	s_wait_loadcnt 0x9
	v_mul_f32_e32 v4, v33, v15
	v_add_nc_u32_e32 v57, 0x400, v55
	v_add_nc_u32_e32 v20, 0x1000, v55
	v_add_nc_u32_e32 v21, 0x1800, v55
	ds_store_2addr_b64 v55, v[1:2], v[5:6] offset0:70 offset1:140
	s_wait_loadcnt 0x8
	v_mul_f32_e32 v6, v35, v17
	v_dual_mul_f32 v5, v30, v13 :: v_dual_fmac_f32 v4, v32, v14
	v_mul_f32_e32 v2, v31, v13
	v_fma_f32 v1, v29, v8, -v3
	s_wait_loadcnt 0x7
	v_mul_f32_e32 v8, v37, v19
	v_fma_f32 v3, v31, v12, -v5
	v_dual_mul_f32 v5, v32, v15 :: v_dual_fmac_f32 v6, v34, v16
	s_delay_alu instid0(VALU_DEP_3)
	v_dual_mul_f32 v7, v34, v17 :: v_dual_fmac_f32 v8, v36, v18
	v_mul_f32_e32 v9, v36, v19
	s_wait_loadcnt 0x6
	v_mul_f32_e32 v10, v39, v23
	v_fmac_f32_e32 v2, v30, v12
	v_fma_f32 v5, v33, v14, -v5
	s_wait_loadcnt 0x5
	v_mul_f32_e32 v13, v40, v25
	v_dual_mul_f32 v12, v41, v25 :: v_dual_mul_f32 v11, v38, v23
	v_fma_f32 v7, v35, v16, -v7
	v_fma_f32 v9, v37, v18, -v9
	s_wait_loadcnt 0x4
	v_mul_f32_e32 v14, v43, v27
	v_dual_fmac_f32 v12, v40, v24 :: v_dual_mul_f32 v15, v42, v27
	s_wait_loadcnt 0x2
	v_mul_f32_e32 v16, v45, v49
	v_dual_fmac_f32 v10, v38, v22 :: v_dual_mul_f32 v17, v44, v49
	s_wait_loadcnt 0x0
	v_mul_f32_e32 v18, v47, v51
	s_delay_alu instid0(VALU_DEP_3)
	v_dual_mul_f32 v19, v46, v51 :: v_dual_fmac_f32 v16, v44, v48
	v_fma_f32 v11, v39, v22, -v11
	v_fma_f32 v13, v41, v24, -v13
	v_fmac_f32_e32 v14, v42, v26
	v_fma_f32 v15, v43, v26, -v15
	v_fma_f32 v17, v45, v48, -v17
	v_fmac_f32_e32 v18, v46, v50
	v_fma_f32 v19, v47, v50, -v19
	ds_store_2addr_b64 v57, v[0:1], v[2:3] offset0:82 offset1:152
	ds_store_2addr_b64 v58, v[4:5], v[6:7] offset0:94 offset1:164
	;; [unrolled: 1-line block ×5, first 2 shown]
.LBB0_3:
	s_or_b32 exec_lo, exec_lo, s3
	s_clause 0x1
	s_load_b64 s[4:5], s[0:1], 0x20
	s_load_b64 s[2:3], s[0:1], 0x8
	v_mov_b32_e32 v0, 0
	v_mov_b32_e32 v1, 0
                                        ; kill: def $vgpr2 killed $sgpr0 killed $exec
	global_wb scope:SCOPE_SE
	s_wait_dscnt 0x0
	s_wait_kmcnt 0x0
	s_barrier_signal -1
	s_barrier_wait -1
	global_inv scope:SCOPE_SE
                                        ; implicit-def: $vgpr4
                                        ; implicit-def: $vgpr26
                                        ; implicit-def: $vgpr10
                                        ; implicit-def: $vgpr14
                                        ; implicit-def: $vgpr18
                                        ; implicit-def: $vgpr22
	s_and_saveexec_b32 s0, vcc_lo
	s_cbranch_execz .LBB0_5
; %bb.4:
	v_lshl_add_u32 v24, v54, 3, v85
	s_delay_alu instid0(VALU_DEP_1)
	v_add_nc_u32_e32 v4, 0x800, v24
	v_add_nc_u32_e32 v5, 0x1000, v24
	;; [unrolled: 1-line block ×3, first 2 shown]
	ds_load_2addr_b64 v[0:3], v24 offset1:70
	ds_load_2addr_b64 v[20:23], v24 offset0:140 offset1:210
	ds_load_2addr_b64 v[16:19], v4 offset0:24 offset1:94
	;; [unrolled: 1-line block ×5, first 2 shown]
	ds_load_b64 v[26:27], v24 offset:6720
.LBB0_5:
	s_wait_alu 0xfffe
	s_or_b32 exec_lo, exec_lo, s0
	s_wait_dscnt 0x0
	v_add_f32_e32 v53, v26, v2
	v_sub_f32_e32 v83, v3, v27
	v_sub_f32_e32 v65, v2, v26
	v_dual_sub_f32 v93, v21, v7 :: v_dual_add_f32 v62, v7, v21
	v_sub_f32_e32 v70, v20, v6
	s_delay_alu instid0(VALU_DEP_4) | instskip(NEXT) | instid1(VALU_DEP_4)
	v_mul_f32_e32 v28, 0xbeedf032, v83
	v_mul_f32_e32 v55, 0xbf7e222b, v65
	s_delay_alu instid0(VALU_DEP_4) | instskip(SKIP_1) | instid1(VALU_DEP_4)
	v_dual_add_f32 v61, v6, v20 :: v_dual_mul_f32 v40, 0xbf6f5d39, v93
	v_sub_f32_e32 v94, v23, v5
	v_fmamk_f32 v24, v53, 0x3f62ad3f, v28
	v_mul_f32_e32 v29, 0xbeedf032, v65
	v_mul_f32_e32 v34, 0xbf52af12, v83
	v_add_f32_e32 v57, v27, v3
	s_delay_alu instid0(VALU_DEP_4) | instskip(NEXT) | instid1(VALU_DEP_3)
	v_dual_fmamk_f32 v41, v61, 0xbeb58ec6, v40 :: v_dual_add_f32 v24, v24, v0
	v_dual_sub_f32 v75, v22, v4 :: v_dual_fmamk_f32 v30, v53, 0x3f116cb1, v34
	v_mul_f32_e32 v39, 0xbf52af12, v65
	s_delay_alu instid0(VALU_DEP_4)
	v_fma_f32 v25, 0x3f62ad3f, v57, -v29
	v_mul_f32_e32 v44, 0xbf7e222b, v83
	v_fma_f32 v36, 0x3df6dbef, v57, -v55
	v_add_f32_e32 v32, v30, v0
	v_fma_f32 v31, 0x3f116cb1, v57, -v39
	v_add_f32_e32 v25, v25, v1
	v_fmamk_f32 v30, v53, 0x3df6dbef, v44
	v_dual_add_f32 v36, v36, v1 :: v_dual_mul_f32 v63, 0xbe750f2a, v70
	s_delay_alu instid0(VALU_DEP_4) | instskip(SKIP_1) | instid1(VALU_DEP_4)
	v_add_f32_e32 v33, v31, v1
	v_mul_f32_e32 v31, 0xbf52af12, v70
	v_dual_add_f32 v35, v30, v0 :: v_dual_mul_f32 v30, 0xbf52af12, v93
	v_dual_add_f32 v69, v5, v23 :: v_dual_mul_f32 v58, 0x3f6f5d39, v94
	s_delay_alu instid0(VALU_DEP_3) | instskip(SKIP_1) | instid1(VALU_DEP_4)
	v_fma_f32 v38, 0x3f116cb1, v62, -v31
	v_mul_f32_e32 v52, 0xbe750f2a, v93
	v_fmamk_f32 v37, v61, 0x3f116cb1, v30
	v_mul_f32_e32 v43, 0xbf6f5d39, v70
	s_delay_alu instid0(VALU_DEP_4) | instskip(SKIP_1) | instid1(VALU_DEP_4)
	v_dual_add_f32 v68, v4, v22 :: v_dual_add_f32 v25, v38, v25
	v_sub_f32_e32 v96, v19, v9
	v_add_f32_e32 v24, v37, v24
	s_delay_alu instid0(VALU_DEP_4) | instskip(SKIP_2) | instid1(VALU_DEP_3)
	v_fma_f32 v42, 0xbeb58ec6, v62, -v43
	v_dual_add_f32 v37, v41, v32 :: v_dual_mul_f32 v32, 0xbf7e222b, v94
	v_dual_mul_f32 v45, 0xbe750f2a, v94 :: v_dual_mul_f32 v50, 0xbe750f2a, v75
	v_add_f32_e32 v38, v42, v33
	v_fma_f32 v42, 0xbf788fa5, v62, -v63
	v_fmamk_f32 v41, v61, 0xbf788fa5, v52
	s_delay_alu instid0(VALU_DEP_4) | instskip(SKIP_1) | instid1(VALU_DEP_4)
	v_fmamk_f32 v47, v68, 0xbf788fa5, v45
	v_dual_sub_f32 v82, v16, v10 :: v_dual_add_f32 v71, v10, v16
	v_add_f32_e32 v36, v42, v36
	v_fma_f32 v42, 0xbf788fa5, v69, -v50
	v_mul_f32_e32 v33, 0xbf7e222b, v75
	v_add_f32_e32 v41, v41, v35
	v_dual_mul_f32 v72, 0x3f6f5d39, v75 :: v_dual_add_f32 v37, v47, v37
	v_dual_sub_f32 v89, v18, v8 :: v_dual_sub_f32 v90, v12, v14
	s_delay_alu instid0(VALU_DEP_4) | instskip(NEXT) | instid1(VALU_DEP_3)
	v_fma_f32 v46, 0x3df6dbef, v69, -v33
	v_fma_f32 v47, 0xbeb58ec6, v69, -v72
	v_fmamk_f32 v35, v68, 0x3df6dbef, v32
	v_dual_add_f32 v73, v11, v17 :: v_dual_mul_f32 v60, 0x3f29c268, v82
	s_delay_alu instid0(VALU_DEP_4)
	v_add_f32_e32 v25, v46, v25
	v_add_f32_e32 v46, v42, v38
	v_dual_mul_f32 v38, 0xbf6f5d39, v82 :: v_dual_sub_f32 v95, v17, v11
	v_fmamk_f32 v42, v68, 0xbeb58ec6, v58
	v_add_f32_e32 v36, v47, v36
	v_add_f32_e32 v24, v35, v24
	s_delay_alu instid0(VALU_DEP_4) | instskip(NEXT) | instid1(VALU_DEP_4)
	v_dual_add_f32 v74, v8, v18 :: v_dual_mul_f32 v35, 0xbf6f5d39, v95
	v_add_f32_e32 v79, v42, v41
	v_mul_f32_e32 v51, 0x3f7e222b, v96
	v_dual_add_f32 v77, v9, v19 :: v_dual_mul_f32 v92, 0xbf52af12, v89
	s_delay_alu instid0(VALU_DEP_4) | instskip(SKIP_3) | instid1(VALU_DEP_4)
	v_fmamk_f32 v48, v71, 0xbeb58ec6, v35
	v_fma_f32 v42, 0xbeb58ec6, v73, -v38
	v_mul_f32_e32 v41, 0xbf29c268, v96
	v_dual_sub_f32 v97, v13, v15 :: v_dual_mul_f32 v64, 0x3eedf032, v90
	v_add_f32_e32 v24, v48, v24
	v_fma_f32 v48, 0xbf3f9e67, v73, -v60
	v_mul_f32_e32 v59, 0x3f29c268, v95
	v_fmamk_f32 v56, v74, 0x3df6dbef, v51
	v_fma_f32 v100, 0x3f116cb1, v77, -v92
	v_mul_f32_e32 v91, 0x3eedf032, v82
	v_add_f32_e32 v25, v42, v25
	v_mul_f32_e32 v42, 0xbf29c268, v89
	v_dual_add_f32 v46, v48, v46 :: v_dual_fmamk_f32 v47, v71, 0xbf3f9e67, v59
	v_add_f32_e32 v80, v14, v12
	v_mul_f32_e32 v48, 0xbe750f2a, v97
	v_fma_f32 v84, 0x3f62ad3f, v73, -v91
	v_fmamk_f32 v49, v74, 0xbf3f9e67, v41
	v_dual_add_f32 v81, v15, v13 :: v_dual_mul_f32 v76, 0x3eedf032, v95
	global_wb scope:SCOPE_SE
	v_add_f32_e32 v36, v84, v36
	v_dual_add_f32 v24, v49, v24 :: v_dual_mul_f32 v49, 0xbe750f2a, v90
	v_dual_add_f32 v37, v47, v37 :: v_dual_fmamk_f32 v78, v80, 0xbf788fa5, v48
	v_fma_f32 v47, 0xbf3f9e67, v77, -v42
	v_mul_f32_e32 v67, 0x3f7e222b, v89
	s_delay_alu instid0(VALU_DEP_3) | instskip(NEXT) | instid1(VALU_DEP_3)
	v_dual_mul_f32 v84, 0xbf29c268, v90 :: v_dual_add_f32 v37, v56, v37
	v_dual_add_f32 v24, v78, v24 :: v_dual_add_f32 v25, v47, v25
	v_mul_f32_e32 v78, 0xbf52af12, v96
	s_delay_alu instid0(VALU_DEP_4)
	v_fma_f32 v47, 0x3df6dbef, v77, -v67
	v_mul_f32_e32 v56, 0x3eedf032, v97
	v_fma_f32 v88, 0xbf788fa5, v81, -v49
	v_fma_f32 v101, 0x3f62ad3f, v81, -v64
	v_fmamk_f32 v99, v74, 0x3f116cb1, v78
	v_add_f32_e32 v47, v47, v46
	v_fmamk_f32 v46, v71, 0x3f62ad3f, v76
	v_fmamk_f32 v98, v80, 0x3f62ad3f, v56
	v_add_f32_e32 v100, v100, v36
	v_fma_f32 v102, 0xbf3f9e67, v81, -v84
	v_add_f32_e32 v47, v101, v47
	v_dual_add_f32 v46, v46, v79 :: v_dual_mul_f32 v79, 0xbf29c268, v97
	v_add_f32_e32 v25, v88, v25
	v_mul_lo_u16 v88, v86, 13
	s_barrier_signal -1
	s_delay_alu instid0(VALU_DEP_3)
	v_dual_add_f32 v99, v99, v46 :: v_dual_fmamk_f32 v36, v80, 0xbf3f9e67, v79
	v_add_f32_e32 v46, v98, v37
	v_add_f32_e32 v37, v102, v100
	s_barrier_wait -1
	global_inv scope:SCOPE_SE
	v_add_f32_e32 v36, v36, v99
	s_and_saveexec_b32 s0, vcc_lo
	s_cbranch_execz .LBB0_7
; %bb.6:
	v_mul_f32_e32 v104, 0xbf6f5d39, v83
	v_mul_f32_e32 v102, 0xbeb58ec6, v57
	;; [unrolled: 1-line block ×5, first 2 shown]
	v_fmamk_f32 v99, v53, 0xbeb58ec6, v104
	v_mul_f32_e32 v120, 0x3f116cb1, v73
	v_fmamk_f32 v101, v61, 0xbf3f9e67, v107
	v_mul_f32_e32 v116, 0x3f52af12, v97
	v_fmamk_f32 v115, v74, 0xbf788fa5, v112
	v_dual_add_f32 v99, v99, v0 :: v_dual_mul_f32 v106, 0x3df6dbef, v73
	v_mul_f32_e32 v114, 0x3f116cb1, v81
	v_fmamk_f32 v123, v82, 0xbf52af12, v120
	v_mul_f32_e32 v119, 0xbe750f2a, v83
	s_delay_alu instid0(VALU_DEP_4) | instskip(SKIP_4) | instid1(VALU_DEP_4)
	v_add_f32_e32 v99, v101, v99
	v_fmamk_f32 v98, v65, 0x3f6f5d39, v102
	v_mul_f32_e32 v103, 0xbf3f9e67, v62
	v_fmamk_f32 v101, v82, 0x3f7e222b, v106
	v_fmamk_f32 v118, v90, 0xbf52af12, v114
	v_dual_fmamk_f32 v121, v53, 0xbf788fa5, v119 :: v_dual_add_f32 v98, v98, v1
	s_delay_alu instid0(VALU_DEP_4)
	v_fmamk_f32 v100, v70, 0xbf29c268, v103
	v_mul_f32_e32 v105, 0x3f62ad3f, v69
	v_mul_f32_e32 v122, 0x3eedf032, v93
	;; [unrolled: 1-line block ×4, first 2 shown]
	v_add_f32_e32 v98, v100, v98
	v_fmamk_f32 v110, v75, 0xbeedf032, v105
	v_mul_f32_e32 v117, 0xbf3f9e67, v69
	v_mul_f32_e32 v93, 0x3f7e222b, v93
	v_fmamk_f32 v131, v70, 0xbf7e222b, v128
	v_fmac_f32_e32 v128, 0x3f7e222b, v70
	v_dual_add_f32 v98, v110, v98 :: v_dual_mul_f32 v109, 0xbf7e222b, v95
	v_mul_f32_e32 v124, 0xbeb58ec6, v77
	v_fmac_f32_e32 v103, 0x3f29c268, v70
	s_delay_alu instid0(VALU_DEP_3) | instskip(NEXT) | instid1(VALU_DEP_4)
	v_dual_fmac_f32 v105, 0x3eedf032, v75 :: v_dual_add_f32 v98, v101, v98
	v_fmamk_f32 v110, v71, 0x3df6dbef, v109
	v_dual_mul_f32 v108, 0x3eedf032, v94 :: v_dual_add_f32 v121, v121, v0
	v_fmamk_f32 v101, v65, 0x3e750f2a, v113
	v_fma_f32 v107, 0xbf3f9e67, v61, -v107
	s_delay_alu instid0(VALU_DEP_3) | instskip(SKIP_3) | instid1(VALU_DEP_4)
	v_dual_add_f32 v3, v3, v1 :: v_dual_fmamk_f32 v100, v68, 0x3f62ad3f, v108
	v_fmamk_f32 v125, v61, 0x3f62ad3f, v122
	v_mul_f32_e32 v137, 0xbeb58ec6, v81
	v_mul_f32_e32 v133, 0xbf52af12, v94
	v_add_f32_e32 v3, v21, v3
	v_add_f32_e32 v99, v100, v99
	;; [unrolled: 1-line block ×3, first 2 shown]
	v_fmamk_f32 v100, v89, 0xbe750f2a, v111
	v_mul_f32_e32 v125, 0x3f52af12, v95
	v_mul_f32_e32 v95, 0x3e750f2a, v95
	v_dual_add_f32 v99, v110, v99 :: v_dual_mul_f32 v110, 0x3f62ad3f, v62
	s_delay_alu instid0(VALU_DEP_4) | instskip(SKIP_1) | instid1(VALU_DEP_3)
	v_add_f32_e32 v98, v100, v98
	v_dual_add_f32 v100, v101, v1 :: v_dual_add_f32 v3, v23, v3
	v_add_f32_e32 v115, v115, v99
	s_delay_alu instid0(VALU_DEP_4) | instskip(SKIP_1) | instid1(VALU_DEP_4)
	v_fmamk_f32 v101, v70, 0xbeedf032, v110
	v_fmac_f32_e32 v110, 0x3eedf032, v70
	v_dual_fmac_f32 v102, 0xbf6f5d39, v65 :: v_dual_add_f32 v3, v17, v3
	s_delay_alu instid0(VALU_DEP_3) | instskip(SKIP_1) | instid1(VALU_DEP_3)
	v_dual_fmac_f32 v106, 0xbf7e222b, v82 :: v_dual_add_f32 v99, v101, v100
	v_fmamk_f32 v100, v75, 0x3f29c268, v117
	v_dual_fmamk_f32 v101, v80, 0x3f116cb1, v116 :: v_dual_add_f32 v70, v102, v1
	v_mul_f32_e32 v102, 0x3f62ad3f, v53
	v_fma_f32 v116, 0x3f116cb1, v80, -v116
	s_delay_alu instid0(VALU_DEP_4) | instskip(NEXT) | instid1(VALU_DEP_4)
	v_dual_add_f32 v100, v100, v99 :: v_dual_add_f32 v99, v118, v98
	v_dual_add_f32 v98, v101, v115 :: v_dual_mul_f32 v101, 0xbf3f9e67, v57
	v_mul_f32_e32 v126, 0xbf29c268, v94
	s_delay_alu instid0(VALU_DEP_3) | instskip(SKIP_1) | instid1(VALU_DEP_4)
	v_dual_add_f32 v100, v123, v100 :: v_dual_fmac_f32 v113, 0xbe750f2a, v65
	v_mul_f32_e32 v94, 0x3f62ad3f, v77
	v_fmamk_f32 v127, v65, 0x3f29c268, v101
	v_fmac_f32_e32 v101, 0xbf29c268, v65
	v_fmamk_f32 v123, v68, 0xbf3f9e67, v126
	v_fmamk_f32 v118, v89, 0x3f6f5d39, v124
	v_add_f32_e32 v113, v113, v1
	v_add_f32_e32 v127, v127, v1
	;; [unrolled: 1-line block ×4, first 2 shown]
	v_dual_mul_f32 v123, 0x3df6dbef, v81 :: v_dual_add_f32 v100, v118, v100
	v_dual_add_f32 v110, v110, v113 :: v_dual_fmac_f32 v117, 0xbf29c268, v75
	v_fmamk_f32 v118, v71, 0x3f116cb1, v125
	s_delay_alu instid0(VALU_DEP_3)
	v_fmamk_f32 v129, v90, 0xbf7e222b, v123
	v_fmamk_f32 v136, v89, 0xbeedf032, v94
	v_fmac_f32_e32 v94, 0x3eedf032, v89
	v_add_f32_e32 v110, v117, v110
	v_dual_mul_f32 v132, 0x3f116cb1, v69 :: v_dual_add_f32 v127, v131, v127
	v_dual_add_f32 v101, v129, v100 :: v_dual_add_f32 v100, v128, v130
	v_mul_f32_e32 v130, 0xbf788fa5, v73
	v_mul_f32_e32 v129, 0x3f7e222b, v97
	v_add_f32_e32 v115, v118, v115
	v_fma_f32 v113, 0xbf788fa5, v53, -v119
	v_add_f32_e32 v70, v103, v70
	v_fmamk_f32 v134, v82, 0xbe750f2a, v130
	v_fmamk_f32 v135, v80, 0x3df6dbef, v129
	v_mul_f32_e32 v121, 0xbf6f5d39, v96
	v_fmac_f32_e32 v130, 0x3e750f2a, v82
	v_dual_add_f32 v70, v105, v70 :: v_dual_fmac_f32 v111, 0x3e750f2a, v89
	s_delay_alu instid0(VALU_DEP_3) | instskip(SKIP_1) | instid1(VALU_DEP_3)
	v_dual_add_f32 v3, v19, v3 :: v_dual_fmamk_f32 v118, v74, 0xbeb58ec6, v121
	v_sub_f32_e32 v17, v102, v28
	v_add_f32_e32 v70, v106, v70
	s_delay_alu instid0(VALU_DEP_3) | instskip(NEXT) | instid1(VALU_DEP_4)
	v_dual_mul_f32 v106, 0xbeb58ec6, v61 :: v_dual_add_f32 v3, v13, v3
	v_dual_add_f32 v115, v118, v115 :: v_dual_fmamk_f32 v118, v75, 0x3f52af12, v132
	v_fmac_f32_e32 v132, 0xbf52af12, v75
	v_fmac_f32_e32 v120, 0x3f52af12, v82
	v_mul_f32_e32 v75, 0x3f62ad3f, v57
	v_dual_mul_f32 v82, 0x3df6dbef, v53 :: v_dual_add_f32 v3, v15, v3
	s_delay_alu instid0(VALU_DEP_4) | instskip(SKIP_2) | instid1(VALU_DEP_3)
	v_add_f32_e32 v100, v132, v100
	v_fma_f32 v132, 0x3df6dbef, v61, -v93
	v_dual_fmamk_f32 v93, v61, 0x3df6dbef, v93 :: v_dual_add_f32 v110, v120, v110
	v_dual_add_f32 v3, v9, v3 :: v_dual_add_f32 v130, v130, v100
	v_mul_f32_e32 v83, 0xbf29c268, v83
	v_add_f32_e32 v100, v135, v115
	v_fma_f32 v103, 0xbeb58ec6, v74, -v121
	s_delay_alu instid0(VALU_DEP_4) | instskip(NEXT) | instid1(VALU_DEP_4)
	v_dual_add_f32 v3, v11, v3 :: v_dual_add_f32 v94, v94, v130
	v_fma_f32 v128, 0xbf3f9e67, v53, -v83
	v_fmamk_f32 v83, v53, 0xbf3f9e67, v83
	s_delay_alu instid0(VALU_DEP_3) | instskip(SKIP_1) | instid1(VALU_DEP_4)
	v_dual_fmac_f32 v114, 0x3f52af12, v90 :: v_dual_add_f32 v3, v5, v3
	v_add_f32_e32 v2, v2, v0
	v_add_f32_e32 v128, v128, v0
	s_delay_alu instid0(VALU_DEP_4) | instskip(NEXT) | instid1(VALU_DEP_3)
	v_add_f32_e32 v83, v83, v0
	v_dual_add_f32 v7, v7, v3 :: v_dual_add_f32 v20, v20, v2
	s_delay_alu instid0(VALU_DEP_3) | instskip(SKIP_1) | instid1(VALU_DEP_4)
	v_add_f32_e32 v128, v132, v128
	v_fma_f32 v132, 0x3f116cb1, v68, -v133
	v_add_f32_e32 v83, v93, v83
	v_add_f32_e32 v118, v118, v127
	v_mul_f32_e32 v96, 0x3eedf032, v96
	v_fmamk_f32 v127, v68, 0x3f116cb1, v133
	v_add_f32_e32 v128, v132, v128
	v_fma_f32 v132, 0xbf788fa5, v71, -v95
	v_fmamk_f32 v95, v71, 0xbf788fa5, v95
	v_fmac_f32_e32 v123, 0x3f7e222b, v90
	v_add_f32_e32 v83, v127, v83
	v_fma_f32 v117, 0x3df6dbef, v80, -v129
	v_add_f32_e32 v115, v132, v128
	v_fma_f32 v128, 0x3f62ad3f, v74, -v96
	v_fmac_f32_e32 v124, 0xbf6f5d39, v89
	v_mul_f32_e32 v97, 0xbf6f5d39, v97
	v_add_f32_e32 v83, v95, v83
	v_mul_f32_e32 v89, 0xbeb58ec6, v62
	v_dual_add_f32 v115, v128, v115 :: v_dual_sub_f32 v40, v106, v40
	s_delay_alu instid0(VALU_DEP_4) | instskip(NEXT) | instid1(VALU_DEP_1)
	v_fma_f32 v128, 0xbeb58ec6, v80, -v97
	v_dual_add_f32 v20, v22, v20 :: v_dual_add_f32 v93, v128, v115
	v_add_f32_e32 v115, v134, v118
	v_fmamk_f32 v130, v90, 0x3f6f5d39, v137
	v_fmac_f32_e32 v137, 0xbf6f5d39, v90
	v_dual_add_f32 v95, v113, v0 :: v_dual_fmamk_f32 v96, v74, 0x3f62ad3f, v96
	v_fma_f32 v113, 0x3f62ad3f, v61, -v122
	v_add_f32_e32 v115, v136, v115
	v_mul_f32_e32 v105, 0x3f116cb1, v57
	v_mul_f32_e32 v57, 0x3df6dbef, v57
	v_add_f32_e32 v83, v96, v83
	v_add_f32_e32 v65, v113, v95
	v_fma_f32 v95, 0xbf3f9e67, v68, -v126
	v_add_f32_e32 v96, v124, v110
	v_dual_mul_f32 v110, 0x3df6dbef, v68 :: v_dual_add_f32 v55, v55, v57
	s_delay_alu instid0(VALU_DEP_3) | instskip(SKIP_2) | instid1(VALU_DEP_4)
	v_dual_mul_f32 v90, 0xbeb58ec6, v71 :: v_dual_add_f32 v65, v95, v65
	v_fma_f32 v95, 0x3f116cb1, v71, -v125
	v_mul_f32_e32 v113, 0x3f62ad3f, v81
	v_add_f32_e32 v55, v55, v1
	v_add_f32_e32 v43, v43, v89
	v_sub_f32_e32 v9, v90, v35
	v_add_f32_e32 v65, v95, v65
	v_mul_f32_e32 v95, 0x3f116cb1, v53
	v_fma_f32 v53, 0xbeb58ec6, v53, -v104
	v_mul_f32_e32 v104, 0x3f116cb1, v62
	s_delay_alu instid0(VALU_DEP_4) | instskip(SKIP_1) | instid1(VALU_DEP_4)
	v_dual_mul_f32 v62, 0xbf788fa5, v62 :: v_dual_add_f32 v65, v103, v65
	v_mul_f32_e32 v103, 0x3f116cb1, v61
	v_add_f32_e32 v53, v53, v0
	v_mul_f32_e32 v61, 0xbf788fa5, v61
	s_delay_alu instid0(VALU_DEP_4) | instskip(SKIP_1) | instid1(VALU_DEP_4)
	v_add_f32_e32 v57, v63, v62
	v_fma_f32 v63, 0x3f62ad3f, v68, -v108
	v_dual_mul_f32 v108, 0xbf3f9e67, v71 :: v_dual_add_f32 v53, v107, v53
	v_mul_f32_e32 v107, 0x3df6dbef, v69
	s_delay_alu instid0(VALU_DEP_4)
	v_add_f32_e32 v55, v57, v55
	v_fma_f32 v57, 0x3df6dbef, v71, -v109
	v_mul_f32_e32 v71, 0x3f62ad3f, v71
	v_add_f32_e32 v53, v63, v53
	v_mul_f32_e32 v62, 0xbf788fa5, v69
	v_mul_f32_e32 v69, 0xbeb58ec6, v69
	v_sub_f32_e32 v61, v61, v52
	s_delay_alu instid0(VALU_DEP_4)
	v_dual_add_f32 v52, v123, v96 :: v_dual_add_f32 v53, v57, v53
	v_fma_f32 v57, 0xbf788fa5, v74, -v112
	v_mul_f32_e32 v63, 0xbeb58ec6, v73
	v_add_f32_e32 v69, v72, v69
	v_mul_f32_e32 v72, 0xbf3f9e67, v73
	v_mul_f32_e32 v73, 0x3f62ad3f, v73
	v_add_f32_e32 v53, v57, v53
	v_mul_f32_e32 v57, 0x3f116cb1, v77
	v_dual_add_f32 v55, v69, v55 :: v_dual_mul_f32 v112, 0xbf788fa5, v81
	s_delay_alu instid0(VALU_DEP_4) | instskip(NEXT) | instid1(VALU_DEP_3)
	v_add_f32_e32 v73, v91, v73
	v_dual_mul_f32 v91, 0x3df6dbef, v74 :: v_dual_add_f32 v92, v92, v57
	v_sub_f32_e32 v57, v82, v44
	v_mul_f32_e32 v82, 0x3f62ad3f, v80
	v_fmamk_f32 v97, v80, 0xbeb58ec6, v97
	v_dual_mul_f32 v81, 0xbf3f9e67, v81 :: v_dual_add_f32 v16, v16, v20
	s_delay_alu instid0(VALU_DEP_4)
	v_add_f32_e32 v96, v57, v0
	v_dual_add_f32 v70, v111, v70 :: v_dual_mul_f32 v111, 0xbf788fa5, v68
	v_mul_f32_e32 v109, 0xbf3f9e67, v74
	v_mul_f32_e32 v74, 0x3f116cb1, v74
	v_sub_f32_e32 v34, v95, v34
	v_dual_add_f32 v44, v130, v115 :: v_dual_add_f32 v39, v39, v105
	v_add_f32_e32 v16, v18, v16
	v_add_f32_e32 v57, v114, v70
	s_delay_alu instid0(VALU_DEP_4) | instskip(NEXT) | instid1(VALU_DEP_4)
	v_add_f32_e32 v34, v34, v0
	v_dual_add_f32 v0, v17, v0 :: v_dual_add_f32 v39, v39, v1
	s_delay_alu instid0(VALU_DEP_4) | instskip(NEXT) | instid1(VALU_DEP_3)
	v_dual_add_f32 v12, v12, v16 :: v_dual_sub_f32 v17, v103, v30
	v_add_f32_e32 v34, v40, v34
	v_sub_f32_e32 v40, v111, v45
	s_delay_alu instid0(VALU_DEP_4) | instskip(NEXT) | instid1(VALU_DEP_4)
	v_dual_sub_f32 v16, v110, v32 :: v_dual_add_f32 v39, v43, v39
	v_add_f32_e32 v12, v14, v12
	v_add_f32_e32 v43, v50, v62
	s_delay_alu instid0(VALU_DEP_4) | instskip(SKIP_3) | instid1(VALU_DEP_4)
	v_dual_add_f32 v34, v40, v34 :: v_dual_add_f32 v55, v73, v55
	v_mul_f32_e32 v73, 0xbf788fa5, v80
	v_dual_mul_f32 v80, 0xbf3f9e67, v80 :: v_dual_mul_f32 v69, 0xbf3f9e67, v77
	v_mul_f32_e32 v77, 0x3df6dbef, v77
	v_dual_add_f32 v55, v92, v55 :: v_dual_add_f32 v0, v17, v0
	v_dual_add_f32 v70, v84, v81 :: v_dual_add_f32 v5, v49, v112
	v_mul_f32_e32 v68, 0xbeb58ec6, v68
	v_add_f32_e32 v81, v61, v96
	v_add_f32_e32 v22, v29, v75
	s_delay_alu instid0(VALU_DEP_4) | instskip(NEXT) | instid1(VALU_DEP_4)
	v_dual_add_f32 v61, v70, v55 :: v_dual_add_f32 v0, v16, v0
	v_sub_f32_e32 v58, v68, v58
	s_delay_alu instid0(VALU_DEP_3)
	v_dual_add_f32 v20, v31, v104 :: v_dual_add_f32 v1, v22, v1
	v_add_f32_e32 v13, v33, v107
	v_sub_f32_e32 v40, v108, v59
	v_sub_f32_e32 v21, v91, v51
	;; [unrolled: 1-line block ×3, first 2 shown]
	v_dual_add_f32 v1, v20, v1 :: v_dual_add_f32 v94, v137, v94
	s_delay_alu instid0(VALU_DEP_4) | instskip(SKIP_2) | instid1(VALU_DEP_4)
	v_dual_add_f32 v34, v40, v34 :: v_dual_add_f32 v51, v117, v65
	v_dual_add_f32 v8, v8, v12 :: v_dual_add_f32 v39, v43, v39
	v_add_f32_e32 v43, v60, v72
	v_add_f32_e32 v1, v13, v1
	;; [unrolled: 1-line block ×3, first 2 shown]
	s_delay_alu instid0(VALU_DEP_4) | instskip(NEXT) | instid1(VALU_DEP_4)
	v_dual_add_f32 v21, v21, v34 :: v_dual_add_f32 v8, v10, v8
	v_dual_add_f32 v39, v43, v39 :: v_dual_add_f32 v0, v9, v0
	v_add_f32_e32 v43, v67, v77
	s_delay_alu instid0(VALU_DEP_3) | instskip(SKIP_1) | instid1(VALU_DEP_3)
	v_dual_sub_f32 v9, v109, v41 :: v_dual_add_f32 v4, v4, v8
	v_dual_add_f32 v1, v13, v1 :: v_dual_and_b32 v10, 0xffff, v88
	v_add_f32_e32 v39, v43, v39
	s_delay_alu instid0(VALU_DEP_3) | instskip(NEXT) | instid1(VALU_DEP_4)
	v_dual_add_f32 v43, v64, v113 :: v_dual_add_f32 v0, v9, v0
	v_dual_add_f32 v9, v6, v4 :: v_dual_add_f32 v6, v27, v7
	v_add_f32_e32 v56, v116, v53
	s_delay_alu instid0(VALU_DEP_3) | instskip(SKIP_2) | instid1(VALU_DEP_1)
	v_dual_add_f32 v2, v43, v39 :: v_dual_add_f32 v55, v58, v81
	v_sub_f32_e32 v8, v73, v48
	v_dual_sub_f32 v58, v71, v76 :: v_dual_add_f32 v43, v97, v83
	v_dual_add_f32 v3, v8, v0 :: v_dual_add_f32 v50, v58, v55
	v_sub_f32_e32 v55, v74, v78
	v_add_lshl_u32 v0, v54, v10, 3
	s_delay_alu instid0(VALU_DEP_2) | instskip(SKIP_1) | instid1(VALU_DEP_2)
	v_dual_add_f32 v45, v55, v50 :: v_dual_sub_f32 v50, v80, v79
	v_add_f32_e32 v12, v42, v69
	v_add_f32_e32 v60, v50, v45
	s_delay_alu instid0(VALU_DEP_2) | instskip(NEXT) | instid1(VALU_DEP_1)
	v_add_f32_e32 v1, v12, v1
	v_add_f32_e32 v4, v5, v1
	;; [unrolled: 1-line block ×4, first 2 shown]
	ds_store_2addr_b64 v0, v[5:6], v[3:4] offset1:1
	ds_store_2addr_b64 v0, v[1:2], v[60:61] offset0:2 offset1:3
	ds_store_2addr_b64 v0, v[56:57], v[93:94] offset0:4 offset1:5
	;; [unrolled: 1-line block ×5, first 2 shown]
	ds_store_b64 v0, v[24:25] offset:96
.LBB0_7:
	s_wait_alu 0xfffe
	s_or_b32 exec_lo, exec_lo, s0
	v_and_b32_e32 v0, 0xff, v86
	v_add_co_u32 v2, null, 0xb6, v86
	v_add_co_u32 v4, null, 0x16c, v86
	s_delay_alu instid0(VALU_DEP_3) | instskip(NEXT) | instid1(VALU_DEP_3)
	v_mul_lo_u16 v0, 0x4f, v0
	v_and_b32_e32 v5, 0xffff, v2
	v_add_co_u32 v48, s0, 0x5b, v86
	s_delay_alu instid0(VALU_DEP_4) | instskip(NEXT) | instid1(VALU_DEP_4)
	v_and_b32_e32 v7, 0xffff, v4
	v_lshrrev_b16 v8, 10, v0
	s_delay_alu instid0(VALU_DEP_4)
	v_mul_u32_u24_e32 v5, 0x4ec5, v5
	s_load_b128 s[4:7], s[4:5], 0x0
	global_wb scope:SCOPE_SE
	s_wait_dscnt 0x0
	v_mul_u32_u24_e32 v7, 0x4ec5, v7
	v_mul_lo_u16 v9, v8, 13
	v_lshrrev_b32_e32 v26, 18, v5
	s_wait_kmcnt 0x0
	s_barrier_signal -1
	s_barrier_wait -1
	v_lshrrev_b32_e32 v28, 18, v7
	v_sub_nc_u16 v5, v86, v9
	v_mul_lo_u16 v7, v26, 13
	global_inv scope:SCOPE_SE
	v_add_co_u32 v3, null, 0x111, v86
	v_and_b32_e32 v29, 0xff, v5
	v_sub_nc_u16 v30, v2, v7
	v_mul_lo_u16 v9, v28, 13
	s_delay_alu instid0(VALU_DEP_4)
	v_and_b32_e32 v6, 0xffff, v3
	v_add_lshl_u32 v89, v54, v86, 3
	v_lshlrev_b32_e32 v2, 3, v29
	v_mad_u16 v26, v26, 26, v30
	v_sub_nc_u16 v33, v4, v9
	v_mul_u32_u24_e32 v6, 0x4ec5, v6
	v_add_nc_u32_e32 v16, 0x400, v89
	global_load_b64 v[67:68], v2, s[2:3]
	v_and_b32_e32 v1, 0xff, v48
	v_add_nc_u32_e32 v20, 0x1400, v89
	v_lshrrev_b32_e32 v27, 18, v6
	v_mad_u16 v28, v28, 26, v33
	v_add_co_ci_u32_e64 v49, null, 0, 0, s0
	v_mul_lo_u16 v1, 0x4f, v1
	s_delay_alu instid0(VALU_DEP_4) | instskip(SKIP_1) | instid1(VALU_DEP_3)
	v_mul_lo_u16 v5, v27, 13
	v_cmp_gt_u16_e64 s0, 39, v86
                                        ; implicit-def: $vgpr52
	v_lshrrev_b16 v12, 10, v1
	s_delay_alu instid0(VALU_DEP_3) | instskip(SKIP_1) | instid1(VALU_DEP_3)
	v_sub_nc_u16 v31, v3, v5
	v_and_b32_e32 v5, 0xffff, v33
	v_mul_lo_u16 v6, v12, 13
	v_and_b32_e32 v35, 0xffff, v12
	s_delay_alu instid0(VALU_DEP_4) | instskip(NEXT) | instid1(VALU_DEP_3)
	v_mad_u16 v27, v27, 26, v31
	v_sub_nc_u16 v6, v48, v6
	s_delay_alu instid0(VALU_DEP_1) | instskip(NEXT) | instid1(VALU_DEP_1)
	v_and_b32_e32 v32, 0xff, v6
	v_lshlrev_b32_e32 v4, 3, v32
	global_load_b64 v[73:74], v4, s[2:3]
	v_and_b32_e32 v3, 0xffff, v30
	v_and_b32_e32 v2, 0xffff, v31
	v_lshlrev_b32_e32 v4, 3, v5
	s_delay_alu instid0(VALU_DEP_3) | instskip(NEXT) | instid1(VALU_DEP_3)
	v_lshlrev_b32_e32 v3, 3, v3
	v_lshlrev_b32_e32 v2, 3, v2
	s_clause 0x2
	global_load_b64 v[75:76], v3, s[2:3]
	global_load_b64 v[71:72], v2, s[2:3]
	;; [unrolled: 1-line block ×3, first 2 shown]
	ds_load_2addr_b64 v[4:7], v89 offset1:91
	v_add_nc_u32_e32 v2, 0x800, v89
	v_and_b32_e32 v13, 0xffff, v8
	v_add_nc_u32_e32 v3, 0x1000, v89
	ds_load_2addr_b64 v[8:11], v2 offset0:108 offset1:199
	v_mul_u32_u24_e32 v34, 26, v13
	ds_load_2addr_b64 v[12:15], v3 offset0:34 offset1:125
	ds_load_2addr_b64 v[16:19], v16 offset0:54 offset1:145
	ds_load_2addr_b64 v[20:23], v20 offset0:88 offset1:179
	v_and_b32_e32 v27, 0xffff, v27
	global_wb scope:SCOPE_SE
	s_wait_loadcnt_dscnt 0x0
	s_barrier_signal -1
	s_barrier_wait -1
	global_inv scope:SCOPE_SE
	v_add_lshl_u32 v94, v54, v27, 3
	v_mul_f32_e32 v30, v10, v68
	s_delay_alu instid0(VALU_DEP_1) | instskip(SKIP_3) | instid1(VALU_DEP_2)
	v_fmac_f32_e32 v30, v11, v67
	v_mul_f32_e32 v27, v15, v76
	v_mul_f32_e32 v31, v20, v72
	;; [unrolled: 1-line block ×3, first 2 shown]
	v_dual_fmac_f32 v31, v21, v71 :: v_dual_and_b32 v26, 0xffff, v26
	s_delay_alu instid0(VALU_DEP_2) | instskip(NEXT) | instid1(VALU_DEP_2)
	v_dual_fmac_f32 v33, v23, v69 :: v_dual_and_b32 v28, 0xffff, v28
	v_add_lshl_u32 v96, v54, v26, 3
	v_mul_f32_e32 v26, v12, v74
	s_delay_alu instid0(VALU_DEP_3) | instskip(SKIP_4) | instid1(VALU_DEP_4)
	v_add_lshl_u32 v93, v54, v28, 3
	v_mul_f32_e32 v28, v14, v76
	v_fma_f32 v14, v14, v75, -v27
	v_add_nc_u32_e32 v29, v34, v29
	v_dual_fmac_f32 v26, v13, v73 :: v_dual_sub_f32 v27, v19, v31
	v_fmac_f32_e32 v28, v15, v75
	s_delay_alu instid0(VALU_DEP_4)
	v_sub_f32_e32 v14, v16, v14
	v_mul_u32_u24_e32 v34, 26, v35
	v_sub_f32_e32 v35, v9, v33
	v_add_lshl_u32 v95, v54, v29, 3
	v_sub_f32_e32 v15, v17, v28
	v_fma_f32 v16, v16, 2.0, -v14
	v_dual_mul_f32 v32, v23, v70 :: v_dual_add_nc_u32 v29, v34, v32
	v_fma_f32 v19, v19, 2.0, -v27
	s_delay_alu instid0(VALU_DEP_4) | instskip(NEXT) | instid1(VALU_DEP_3)
	v_fma_f32 v17, v17, 2.0, -v15
	v_add_lshl_u32 v97, v54, v29, 3
	v_mul_f32_e32 v29, v11, v68
	v_mul_f32_e32 v11, v13, v74
	v_sub_f32_e32 v13, v7, v26
	s_delay_alu instid0(VALU_DEP_3) | instskip(SKIP_1) | instid1(VALU_DEP_4)
	v_fma_f32 v10, v10, v67, -v29
	v_mul_f32_e32 v29, v21, v72
	v_fma_f32 v12, v12, v73, -v11
	v_fma_f32 v21, v22, v69, -v32
	v_sub_f32_e32 v11, v5, v30
	v_sub_f32_e32 v10, v4, v10
	v_fma_f32 v20, v20, v71, -v29
	v_sub_f32_e32 v12, v6, v12
	v_sub_f32_e32 v34, v8, v21
	v_fma_f32 v5, v5, 2.0, -v11
	v_fma_f32 v4, v4, 2.0, -v10
	v_sub_f32_e32 v26, v18, v20
	v_fma_f32 v6, v6, 2.0, -v12
	v_fma_f32 v7, v7, 2.0, -v13
	;; [unrolled: 1-line block ×5, first 2 shown]
	ds_store_2addr_b64 v95, v[4:5], v[10:11] offset1:13
	ds_store_2addr_b64 v97, v[6:7], v[12:13] offset1:13
	;; [unrolled: 1-line block ×5, first 2 shown]
	global_wb scope:SCOPE_SE
	s_wait_dscnt 0x0
	s_barrier_signal -1
	s_barrier_wait -1
	global_inv scope:SCOPE_SE
	ds_load_2addr_b64 v[30:33], v89 offset1:130
	ds_load_2addr_b64 v[42:45], v2 offset0:4 offset1:134
	ds_load_2addr_b64 v[38:41], v3 offset0:8 offset1:138
	ds_load_b64 v[50:51], v89 offset:6240
	s_and_saveexec_b32 s1, s0
	s_cbranch_execz .LBB0_9
; %bb.8:
	ds_load_2addr_b64 v[34:37], v2 offset0:95 offset1:225
	ds_load_2addr_b64 v[22:25], v3 offset0:99 offset1:229
	;; [unrolled: 1-line block ×3, first 2 shown]
	ds_load_b64 v[52:53], v89 offset:6968
	s_wait_dscnt 0x2
	v_dual_mov_b32 v46, v22 :: v_dual_mov_b32 v47, v23
.LBB0_9:
	s_wait_alu 0xfffe
	s_or_b32 exec_lo, exec_lo, s1
	v_lshrrev_b16 v55, 11, v0
	v_lshrrev_b16 v91, 11, v1
	s_delay_alu instid0(VALU_DEP_2) | instskip(NEXT) | instid1(VALU_DEP_2)
	v_mul_lo_u16 v0, v55, 26
	v_mul_lo_u16 v2, v91, 26
	s_delay_alu instid0(VALU_DEP_2) | instskip(NEXT) | instid1(VALU_DEP_2)
	v_sub_nc_u16 v0, v86, v0
	v_sub_nc_u16 v2, v48, v2
	s_delay_alu instid0(VALU_DEP_2) | instskip(NEXT) | instid1(VALU_DEP_1)
	v_and_b32_e32 v56, 0xff, v0
	v_mad_co_u64_u32 v[0:1], null, v56, 48, s[2:3]
	s_clause 0x1
	global_load_b128 v[20:23], v[0:1], off offset:104
	global_load_b128 v[16:19], v[0:1], off offset:120
	v_and_b32_e32 v90, 0xff, v2
	v_and_b32_e32 v55, 0xffff, v55
	s_delay_alu instid0(VALU_DEP_1) | instskip(SKIP_1) | instid1(VALU_DEP_1)
	v_mul_u32_u24_e32 v55, 0xb6, v55
	s_wait_loadcnt_dscnt 0x102
	v_dual_mul_f32 v58, v42, v23 :: v_dual_add_nc_u32 v55, v55, v56
	v_mul_f32_e32 v57, v43, v23
	v_mad_co_u64_u32 v[8:9], null, v90, 48, s[2:3]
	s_delay_alu instid0(VALU_DEP_3)
	v_add_lshl_u32 v98, v54, v55, 3
	v_mul_f32_e32 v55, v33, v21
	v_mul_f32_e32 v56, v32, v21
	s_clause 0x3
	global_load_b128 v[12:15], v[0:1], off offset:136
	global_load_b128 v[4:7], v[8:9], off offset:104
	;; [unrolled: 1-line block ×4, first 2 shown]
	s_wait_loadcnt_dscnt 0x401
	v_dual_mul_f32 v59, v45, v17 :: v_dual_mul_f32 v62, v38, v19
	v_dual_mul_f32 v60, v44, v17 :: v_dual_mul_f32 v61, v39, v19
	v_fma_f32 v32, v32, v20, -v55
	global_wb scope:SCOPE_SE
	s_wait_loadcnt_dscnt 0x0
	s_barrier_signal -1
	s_barrier_wait -1
	v_fma_f32 v38, v38, v18, -v61
	global_inv scope:SCOPE_SE
	v_dual_mul_f32 v63, v41, v13 :: v_dual_mul_f32 v80, v35, v7
	v_dual_mul_f32 v64, v40, v13 :: v_dual_mul_f32 v65, v51, v15
	;; [unrolled: 1-line block ×8, first 2 shown]
	v_dual_fmac_f32 v56, v33, v20 :: v_dual_fmac_f32 v77, v51, v14
	v_fma_f32 v33, v42, v22, -v57
	v_dual_fmac_f32 v58, v43, v22 :: v_dual_fmac_f32 v79, v29, v4
	v_dual_fmac_f32 v62, v39, v18 :: v_dual_fmac_f32 v83, v37, v0
	v_fma_f32 v39, v40, v12, -v63
	v_dual_fmac_f32 v64, v41, v12 :: v_dual_add_f32 v37, v56, v77
	v_fma_f32 v40, v50, v14, -v65
	v_fma_f32 v42, v44, v16, -v59
	v_dual_fmac_f32 v60, v45, v16 :: v_dual_fmac_f32 v81, v35, v6
	v_fma_f32 v28, v28, v4, -v78
	v_fma_f32 v29, v34, v6, -v80
	;; [unrolled: 1-line block ×4, first 2 shown]
	v_dual_fmac_f32 v92, v47, v2 :: v_dual_add_f32 v41, v33, v39
	v_fma_f32 v24, v24, v8, -v99
	v_dual_fmac_f32 v100, v25, v8 :: v_dual_add_f32 v45, v60, v62
	v_fma_f32 v25, v52, v10, -v101
	v_dual_fmac_f32 v102, v53, v10 :: v_dual_add_f32 v43, v58, v64
	v_dual_add_f32 v36, v32, v40 :: v_dual_sub_f32 v33, v33, v39
	s_delay_alu instid0(VALU_DEP_2)
	v_dual_sub_f32 v32, v32, v40 :: v_dual_add_f32 v47, v79, v102
	v_dual_sub_f32 v40, v56, v77 :: v_dual_sub_f32 v39, v58, v64
	v_add_f32_e32 v44, v42, v38
	v_dual_sub_f32 v38, v38, v42 :: v_dual_add_f32 v51, v81, v100
	v_sub_f32_e32 v42, v62, v60
	v_add_f32_e32 v46, v28, v25
	v_dual_sub_f32 v25, v28, v25 :: v_dual_sub_f32 v28, v79, v102
	v_add_f32_e32 v55, v41, v36
	v_add_f32_e32 v50, v29, v24
	v_dual_sub_f32 v24, v29, v24 :: v_dual_add_f32 v59, v38, v33
	v_dual_sub_f32 v29, v81, v100 :: v_dual_add_f32 v52, v34, v35
	v_add_f32_e32 v53, v83, v92
	v_dual_sub_f32 v34, v35, v34 :: v_dual_sub_f32 v57, v41, v36
	v_dual_sub_f32 v35, v92, v83 :: v_dual_add_f32 v56, v43, v37
	v_sub_f32_e32 v58, v43, v37
	v_dual_sub_f32 v36, v36, v44 :: v_dual_sub_f32 v37, v37, v45
	v_sub_f32_e32 v41, v44, v41
	v_sub_f32_e32 v43, v45, v43
	v_add_f32_e32 v60, v42, v39
	v_dual_sub_f32 v61, v38, v33 :: v_dual_sub_f32 v38, v32, v38
	v_sub_f32_e32 v62, v42, v39
	v_dual_add_f32 v63, v50, v46 :: v_dual_add_f32 v64, v51, v47
	v_dual_sub_f32 v65, v50, v46 :: v_dual_sub_f32 v84, v24, v25
	v_dual_sub_f32 v50, v52, v50 :: v_dual_add_f32 v79, v35, v29
	v_dual_add_f32 v78, v34, v24 :: v_dual_sub_f32 v81, v35, v29
	v_dual_sub_f32 v80, v34, v24 :: v_dual_sub_f32 v83, v28, v35
	v_dual_sub_f32 v29, v29, v28 :: v_dual_add_f32 v44, v44, v55
	v_dual_add_f32 v45, v45, v56 :: v_dual_sub_f32 v42, v40, v42
	v_sub_f32_e32 v77, v51, v47
	v_sub_f32_e32 v33, v33, v32
	;; [unrolled: 1-line block ×3, first 2 shown]
	v_dual_sub_f32 v46, v46, v52 :: v_dual_sub_f32 v51, v53, v51
	v_dual_sub_f32 v47, v47, v53 :: v_dual_sub_f32 v82, v25, v34
	v_dual_add_f32 v32, v59, v32 :: v_dual_mul_f32 v55, 0x3d64c772, v43
	v_dual_add_f32 v40, v60, v40 :: v_dual_mul_f32 v59, 0xbf08b237, v62
	v_mul_f32_e32 v24, 0x3f4a47b2, v36
	v_mul_f32_e32 v36, 0x3f4a47b2, v37
	v_add_f32_e32 v35, v31, v45
	v_dual_mul_f32 v56, 0xbf08b237, v61 :: v_dual_add_f32 v53, v53, v64
	v_dual_add_f32 v52, v52, v63 :: v_dual_add_f32 v63, v79, v28
	v_add_f32_e32 v62, v78, v25
	v_dual_mul_f32 v78, 0xbf08b237, v80 :: v_dual_mul_f32 v79, 0xbf08b237, v81
	v_dual_add_f32 v34, v30, v44 :: v_dual_mul_f32 v37, 0x3d64c772, v41
	v_dual_mul_f32 v60, 0x3f5ff5aa, v33 :: v_dual_mul_f32 v61, 0x3f5ff5aa, v39
	v_dual_mul_f32 v28, 0x3f4a47b2, v46 :: v_dual_add_f32 v25, v27, v53
	v_dual_mul_f32 v64, 0x3d64c772, v51 :: v_dual_fmamk_f32 v31, v43, 0x3d64c772, v36
	v_fma_f32 v43, 0xbf3bfb3b, v57, -v24
	v_fmamk_f32 v27, v83, 0x3eae86e6, v79
	v_fmamk_f32 v44, v44, 0xbf955555, v34
	;; [unrolled: 1-line block ×3, first 2 shown]
	v_dual_add_f32 v24, v26, v52 :: v_dual_fmamk_f32 v45, v45, 0xbf955555, v35
	v_mul_f32_e32 v46, 0x3f4a47b2, v47
	v_mul_f32_e32 v47, 0x3d64c772, v50
	v_dual_mul_f32 v80, 0x3f5ff5aa, v84 :: v_dual_mul_f32 v81, 0x3f5ff5aa, v29
	v_fma_f32 v37, 0x3f3bfb3b, v57, -v37
	v_fma_f32 v41, 0x3f3bfb3b, v58, -v55
	;; [unrolled: 1-line block ×3, first 2 shown]
	v_fmamk_f32 v57, v38, 0x3eae86e6, v56
	v_fma_f32 v56, 0x3f5ff5aa, v33, -v56
	v_fma_f32 v58, 0x3f5ff5aa, v39, -v59
	;; [unrolled: 1-line block ×3, first 2 shown]
	v_fmamk_f32 v55, v42, 0x3eae86e6, v59
	v_fma_f32 v59, 0xbeae86e6, v38, -v60
	v_fma_f32 v42, 0xbeae86e6, v42, -v61
	;; [unrolled: 1-line block ×3, first 2 shown]
	v_dual_fmamk_f32 v26, v82, 0x3eae86e6, v78 :: v_dual_add_f32 v41, v41, v45
	v_fma_f32 v60, 0x3f5ff5aa, v84, -v78
	v_fma_f32 v61, 0x3f5ff5aa, v29, -v79
	;; [unrolled: 1-line block ×3, first 2 shown]
	s_delay_alu instid0(VALU_DEP_4)
	v_dual_fmac_f32 v57, 0x3ee1c552, v32 :: v_dual_fmac_f32 v26, 0x3ee1c552, v62
	v_dual_fmac_f32 v56, 0x3ee1c552, v32 :: v_dual_fmac_f32 v27, 0x3ee1c552, v63
	v_fmac_f32_e32 v59, 0x3ee1c552, v32
	v_fmamk_f32 v32, v52, 0xbf955555, v24
	v_dual_fmac_f32 v42, 0x3ee1c552, v40 :: v_dual_fmac_f32 v29, 0x3ee1c552, v62
	v_dual_fmac_f32 v60, 0x3ee1c552, v62 :: v_dual_add_f32 v43, v43, v44
	v_add_f32_e32 v62, v30, v44
	s_delay_alu instid0(VALU_DEP_4)
	v_add_f32_e32 v64, v39, v32
	v_fmac_f32_e32 v55, 0x3ee1c552, v40
	v_fmamk_f32 v33, v50, 0x3d64c772, v28
	v_fma_f32 v50, 0xbf3bfb3b, v65, -v28
	v_fma_f32 v28, 0xbeae86e6, v83, -v81
	v_dual_fmac_f32 v58, 0x3ee1c552, v40 :: v_dual_fmac_f32 v61, 0x3ee1c552, v63
	v_dual_fmamk_f32 v40, v53, 0xbf955555, v25 :: v_dual_add_f32 v53, v36, v45
	s_delay_alu instid0(VALU_DEP_3) | instskip(SKIP_2) | instid1(VALU_DEP_4)
	v_dual_fmac_f32 v28, 0x3ee1c552, v63 :: v_dual_add_f32 v63, v31, v45
	v_dual_fmamk_f32 v38, v51, 0x3d64c772, v46 :: v_dual_add_f32 v51, v37, v44
	v_fma_f32 v46, 0xbf3bfb3b, v77, -v46
	v_add_f32_e32 v65, v47, v40
	s_delay_alu instid0(VALU_DEP_4) | instskip(NEXT) | instid1(VALU_DEP_4)
	v_sub_f32_e32 v37, v63, v57
	v_dual_add_f32 v31, v38, v40 :: v_dual_add_f32 v36, v55, v62
	v_add_f32_e32 v30, v33, v32
	v_dual_add_f32 v32, v50, v32 :: v_dual_sub_f32 v39, v53, v59
	v_dual_add_f32 v33, v46, v40 :: v_dual_sub_f32 v44, v51, v58
	v_dual_add_f32 v38, v42, v43 :: v_dual_add_f32 v45, v56, v41
	v_dual_add_f32 v50, v58, v51 :: v_dual_sub_f32 v51, v41, v56
	v_dual_sub_f32 v52, v43, v42 :: v_dual_sub_f32 v55, v62, v55
	v_dual_sub_f32 v46, v64, v61 :: v_dual_sub_f32 v41, v65, v60
	v_dual_add_f32 v47, v60, v65 :: v_dual_add_f32 v40, v61, v64
	v_dual_sub_f32 v42, v32, v28 :: v_dual_add_f32 v43, v29, v33
	v_sub_f32_e32 v77, v30, v27
	v_dual_add_f32 v78, v26, v31 :: v_dual_add_f32 v53, v59, v53
	v_add_f32_e32 v56, v57, v63
	ds_store_2addr_b64 v98, v[34:35], v[36:37] offset1:26
	ds_store_2addr_b64 v98, v[38:39], v[44:45] offset0:52 offset1:78
	ds_store_2addr_b64 v98, v[50:51], v[52:53] offset0:104 offset1:130
	ds_store_b64 v98, v[55:56] offset:1248
	s_and_saveexec_b32 s1, s0
	s_cbranch_execz .LBB0_11
; %bb.10:
	v_dual_sub_f32 v29, v33, v29 :: v_dual_and_b32 v34, 0xffff, v91
	v_dual_sub_f32 v31, v31, v26 :: v_dual_add_f32 v28, v28, v32
	v_add_f32_e32 v30, v27, v30
	s_delay_alu instid0(VALU_DEP_3) | instskip(NEXT) | instid1(VALU_DEP_1)
	v_mul_u32_u24_e32 v34, 0xb6, v34
	v_add_nc_u32_e32 v34, v34, v90
	s_delay_alu instid0(VALU_DEP_1)
	v_add_lshl_u32 v26, v54, v34, 3
	ds_store_2addr_b64 v26, v[24:25], v[30:31] offset1:26
	ds_store_2addr_b64 v26, v[28:29], v[46:47] offset0:52 offset1:78
	ds_store_2addr_b64 v26, v[40:41], v[42:43] offset0:104 offset1:130
	ds_store_b64 v26, v[77:78] offset:1248
.LBB0_11:
	s_wait_alu 0xfffe
	s_or_b32 exec_lo, exec_lo, s1
	v_lshlrev_b64_e32 v[24:25], 5, v[48:49]
	v_lshlrev_b32_e32 v26, 5, v86
	global_wb scope:SCOPE_SE
	s_wait_dscnt 0x0
	s_barrier_signal -1
	s_barrier_wait -1
	global_inv scope:SCOPE_SE
	v_add_co_u32 v24, s1, s2, v24
	s_clause 0x1
	global_load_b128 v[28:31], v26, s[2:3] offset:1352
	global_load_b128 v[32:35], v26, s[2:3] offset:1368
	s_wait_alu 0xf1ff
	v_add_co_ci_u32_e64 v25, s1, s3, v25, s1
	v_add_nc_u32_e32 v44, 0x400, v89
	s_clause 0x1
	global_load_b128 v[36:39], v[24:25], off offset:1352
	global_load_b128 v[24:27], v[24:25], off offset:1368
	v_add_nc_u32_e32 v45, 0x800, v89
	v_add_nc_u32_e32 v48, 0x1000, v89
	ds_load_2addr_b64 v[52:55], v44 offset0:54 offset1:145
	v_add_nc_u32_e32 v44, 0x1400, v89
	ds_load_2addr_b64 v[56:59], v45 offset0:108 offset1:199
	ds_load_2addr_b64 v[60:63], v48 offset0:34 offset1:125
	;; [unrolled: 1-line block ×3, first 2 shown]
	ds_load_2addr_b64 v[48:51], v89 offset1:91
	v_lshl_add_u32 v92, v86, 3, v87
	s_delay_alu instid0(VALU_DEP_1)
	v_add_nc_u32_e32 v64, 0x800, v92
	v_add_nc_u32_e32 v65, 0xc00, v92
	s_wait_loadcnt_dscnt 0x304
	v_dual_mul_f32 v44, v53, v29 :: v_dual_add_nc_u32 v81, 0x1000, v92
	s_wait_loadcnt_dscnt 0x202
	v_mul_f32_e32 v82, v61, v33
	v_mul_f32_e32 v45, v52, v29
	;; [unrolled: 1-line block ×5, first 2 shown]
	s_wait_dscnt 0x1
	v_mul_f32_e32 v84, v100, v35
	v_mul_f32_e32 v103, v99, v35
	v_fma_f32 v44, v52, v28, -v44
	v_fmac_f32_e32 v45, v53, v28
	v_fmac_f32_e32 v83, v61, v32
	v_fma_f32 v52, v56, v30, -v79
	s_wait_loadcnt 0x1
	v_dual_fmac_f32 v80, v57, v30 :: v_dual_mul_f32 v61, v54, v37
	v_fma_f32 v53, v60, v32, -v82
	v_fma_f32 v60, v99, v34, -v84
	v_dual_fmac_f32 v103, v100, v34 :: v_dual_mul_f32 v56, v55, v37
	s_wait_loadcnt 0x0
	v_dual_mul_f32 v57, v59, v39 :: v_dual_mul_f32 v84, v62, v25
	v_dual_mul_f32 v79, v58, v39 :: v_dual_mul_f32 v82, v63, v25
	s_wait_dscnt 0x0
	v_dual_mul_f32 v99, v102, v27 :: v_dual_add_f32 v104, v48, v44
	v_dual_mul_f32 v100, v101, v27 :: v_dual_add_f32 v105, v52, v53
	v_dual_sub_f32 v106, v45, v103 :: v_dual_sub_f32 v109, v60, v53
	v_dual_sub_f32 v107, v80, v83 :: v_dual_sub_f32 v112, v53, v60
	v_dual_sub_f32 v108, v44, v52 :: v_dual_add_f32 v113, v49, v45
	v_dual_add_f32 v110, v44, v60 :: v_dual_sub_f32 v117, v103, v83
	v_dual_sub_f32 v111, v52, v44 :: v_dual_add_f32 v118, v45, v103
	v_dual_add_f32 v114, v80, v83 :: v_dual_fmac_f32 v61, v55, v36
	v_dual_sub_f32 v115, v44, v60 :: v_dual_fmac_f32 v100, v102, v26
	v_dual_sub_f32 v116, v52, v53 :: v_dual_sub_f32 v119, v83, v103
	v_dual_sub_f32 v44, v45, v80 :: v_dual_sub_f32 v45, v80, v45
	v_fma_f32 v54, v54, v36, -v56
	v_fma_f32 v120, v58, v38, -v57
	v_dual_fmac_f32 v79, v59, v38 :: v_dual_add_f32 v52, v104, v52
	v_fma_f32 v62, v62, v24, -v82
	v_fmac_f32_e32 v84, v63, v24
	v_fma_f32 v82, v101, v26, -v99
	v_add_f32_e32 v99, v108, v109
	v_fma_f32 v58, -0.5, v105, v48
	v_fma_f32 v56, -0.5, v110, v48
	v_dual_add_f32 v101, v111, v112 :: v_dual_add_f32 v102, v44, v117
	v_add_f32_e32 v48, v113, v80
	v_fma_f32 v59, -0.5, v114, v49
	v_fma_f32 v57, -0.5, v118, v49
	v_dual_add_f32 v104, v45, v119 :: v_dual_sub_f32 v49, v54, v120
	v_dual_add_f32 v44, v50, v54 :: v_dual_sub_f32 v105, v61, v100
	;; [unrolled: 1-line block ×3, first 2 shown]
	v_sub_f32_e32 v63, v82, v62
	v_dual_add_f32 v80, v54, v82 :: v_dual_add_f32 v111, v51, v61
	v_dual_sub_f32 v109, v120, v54 :: v_dual_add_f32 v112, v79, v84
	v_dual_sub_f32 v114, v120, v62 :: v_dual_add_f32 v119, v61, v100
	v_dual_sub_f32 v110, v62, v82 :: v_dual_sub_f32 v117, v61, v79
	v_dual_sub_f32 v113, v54, v82 :: v_dual_sub_f32 v118, v100, v84
	v_sub_f32_e32 v61, v79, v61
	v_sub_f32_e32 v121, v84, v100
	v_dual_add_f32 v122, v52, v53 :: v_dual_fmamk_f32 v53, v115, 0xbf737871, v59
	v_fmamk_f32 v54, v107, 0xbf737871, v56
	v_dual_fmac_f32 v56, 0x3f737871, v107 :: v_dual_fmamk_f32 v55, v116, 0x3f737871, v57
	v_dual_add_f32 v48, v48, v83 :: v_dual_add_f32 v109, v109, v110
	v_dual_fmac_f32 v59, 0x3f737871, v115 :: v_dual_add_f32 v110, v117, v118
	v_fmac_f32_e32 v57, 0xbf737871, v116
	v_dual_add_f32 v83, v44, v120 :: v_dual_add_f32 v120, v49, v63
	v_fma_f32 v44, -0.5, v45, v50
	v_fma_f32 v50, -0.5, v80, v50
	v_dual_add_f32 v49, v111, v79 :: v_dual_fmac_f32 v54, 0x3f167918, v106
	v_fma_f32 v45, -0.5, v112, v51
	v_dual_fmac_f32 v51, -0.5, v119 :: v_dual_fmac_f32 v56, 0xbf167918, v106
	v_fmamk_f32 v52, v106, 0x3f737871, v58
	v_dual_fmac_f32 v58, 0xbf737871, v106 :: v_dual_add_f32 v111, v61, v121
	v_dual_add_f32 v79, v122, v60 :: v_dual_add_f32 v80, v48, v103
	v_fmac_f32_e32 v53, 0xbf167918, v116
	v_dual_fmac_f32 v59, 0x3f167918, v116 :: v_dual_add_f32 v60, v83, v62
	v_fmamk_f32 v62, v105, 0x3f737871, v44
	v_dual_fmac_f32 v44, 0xbf737871, v105 :: v_dual_add_f32 v61, v49, v84
	v_dual_fmamk_f32 v48, v108, 0xbf737871, v50 :: v_dual_fmamk_f32 v63, v113, 0xbf737871, v45
	v_dual_fmac_f32 v50, 0x3f737871, v108 :: v_dual_fmamk_f32 v49, v114, 0x3f737871, v51
	v_fmac_f32_e32 v45, 0x3f737871, v113
	v_fmac_f32_e32 v51, 0xbf737871, v114
	;; [unrolled: 1-line block ×4, first 2 shown]
	v_dual_fmac_f32 v55, 0xbf167918, v115 :: v_dual_add_f32 v60, v60, v82
	v_dual_fmac_f32 v57, 0x3f167918, v115 :: v_dual_fmac_f32 v62, 0x3f167918, v108
	v_dual_fmac_f32 v44, 0xbf167918, v108 :: v_dual_fmac_f32 v63, 0xbf167918, v114
	v_dual_fmac_f32 v48, 0x3f167918, v105 :: v_dual_add_f32 v61, v61, v100
	v_fmac_f32_e32 v50, 0xbf167918, v105
	v_fmac_f32_e32 v45, 0x3f167918, v114
	;; [unrolled: 1-line block ×4, first 2 shown]
	v_dual_fmac_f32 v52, 0x3e9e377a, v99 :: v_dual_fmac_f32 v53, 0x3e9e377a, v102
	v_dual_fmac_f32 v58, 0x3e9e377a, v99 :: v_dual_fmac_f32 v59, 0x3e9e377a, v102
	;; [unrolled: 1-line block ×8, first 2 shown]
	ds_store_b64 v92, v[79:80]
	ds_store_2addr_b64 v92, v[60:61], v[52:53] offset0:91 offset1:182
	ds_store_2addr_b64 v64, v[62:63], v[54:55] offset0:17 offset1:108
	;; [unrolled: 1-line block ×4, first 2 shown]
	ds_store_b64 v92, v[44:45] offset:6552
	global_wb scope:SCOPE_SE
	s_wait_dscnt 0x0
	s_barrier_signal -1
	s_barrier_wait -1
	global_inv scope:SCOPE_SE
	s_and_saveexec_b32 s1, vcc_lo
	s_cbranch_execz .LBB0_13
; %bb.12:
	global_load_b64 v[82:83], v85, s[8:9] offset:7280
	s_add_nc_u64 s[2:3], s[8:9], 0x1c70
	s_clause 0xb
	global_load_b64 v[123:124], v85, s[2:3] offset:560
	global_load_b64 v[125:126], v85, s[2:3] offset:1120
	;; [unrolled: 1-line block ×12, first 2 shown]
	ds_load_b64 v[99:100], v92
	v_add_nc_u32_e32 v147, 0x400, v92
	s_wait_loadcnt_dscnt 0xc00
	v_mul_f32_e32 v101, v100, v83
	v_mul_f32_e32 v84, v99, v83
	s_delay_alu instid0(VALU_DEP_2) | instskip(NEXT) | instid1(VALU_DEP_2)
	v_fma_f32 v83, v99, v82, -v101
	v_fmac_f32_e32 v84, v100, v82
	ds_store_b64 v92, v[83:84]
	v_add_nc_u32_e32 v84, 0x1800, v92
	ds_load_2addr_b64 v[99:102], v92 offset0:70 offset1:140
	ds_load_2addr_b64 v[103:106], v147 offset0:82 offset1:152
	;; [unrolled: 1-line block ×6, first 2 shown]
	s_wait_loadcnt_dscnt 0xb05
	v_mul_f32_e32 v83, v99, v124
	v_mul_f32_e32 v82, v100, v124
	s_wait_loadcnt_dscnt 0x904
	v_dual_mul_f32 v148, v102, v126 :: v_dual_mul_f32 v149, v104, v128
	s_wait_loadcnt_dscnt 0x703
	v_dual_mul_f32 v124, v101, v126 :: v_dual_mul_f32 v151, v108, v132
	v_dual_mul_f32 v126, v103, v128 :: v_dual_fmac_f32 v83, v100, v123
	s_wait_loadcnt_dscnt 0x502
	v_dual_mul_f32 v150, v106, v130 :: v_dual_mul_f32 v153, v112, v136
	s_wait_loadcnt_dscnt 0x301
	v_dual_mul_f32 v128, v105, v130 :: v_dual_mul_f32 v155, v116, v140
	v_mul_f32_e32 v130, v107, v132
	s_wait_loadcnt_dscnt 0x100
	v_dual_mul_f32 v152, v110, v134 :: v_dual_mul_f32 v157, v120, v144
	v_mul_f32_e32 v132, v109, v134
	v_mul_f32_e32 v134, v111, v136
	;; [unrolled: 1-line block ×8, first 2 shown]
	s_wait_loadcnt 0x0
	v_mul_f32_e32 v158, v122, v146
	v_mul_f32_e32 v144, v121, v146
	v_fma_f32 v82, v99, v123, -v82
	v_fma_f32 v123, v101, v125, -v148
	v_fmac_f32_e32 v124, v102, v125
	v_fma_f32 v125, v103, v127, -v149
	v_fmac_f32_e32 v126, v104, v127
	;; [unrolled: 2-line block ×11, first 2 shown]
	ds_store_2addr_b64 v92, v[82:83], v[123:124] offset0:70 offset1:140
	ds_store_2addr_b64 v147, v[125:126], v[127:128] offset0:82 offset1:152
	;; [unrolled: 1-line block ×6, first 2 shown]
.LBB0_13:
	s_wait_alu 0xfffe
	s_or_b32 exec_lo, exec_lo, s1
	global_wb scope:SCOPE_SE
	s_wait_dscnt 0x0
	s_barrier_signal -1
	s_barrier_wait -1
	global_inv scope:SCOPE_SE
	s_and_saveexec_b32 s1, vcc_lo
	s_cbranch_execz .LBB0_15
; %bb.14:
	v_add_nc_u32_e32 v40, 0x400, v92
	v_add_nc_u32_e32 v41, 0x800, v92
	;; [unrolled: 1-line block ×5, first 2 shown]
	ds_load_b64 v[79:80], v92
	ds_load_2addr_b64 v[52:55], v92 offset0:70 offset1:140
	ds_load_2addr_b64 v[56:59], v40 offset0:82 offset1:152
	;; [unrolled: 1-line block ×6, first 2 shown]
.LBB0_15:
	s_wait_alu 0xfffe
	s_or_b32 exec_lo, exec_lo, s1
	s_wait_dscnt 0x0
	v_dual_sub_f32 v146, v53, v43 :: v_dual_add_f32 v123, v43, v53
	v_dual_add_f32 v120, v42, v52 :: v_dual_sub_f32 v149, v52, v42
	v_dual_sub_f32 v148, v55, v41 :: v_dual_add_f32 v131, v41, v55
	s_delay_alu instid0(VALU_DEP_3) | instskip(SKIP_2) | instid1(VALU_DEP_4)
	v_mul_f32_e32 v108, 0x3f116cb1, v123
	v_mul_f32_e32 v100, 0x3f62ad3f, v123
	v_mul_f32_e32 v105, 0xbf52af12, v146
	v_dual_add_f32 v126, v40, v54 :: v_dual_mul_f32 v101, 0xbf52af12, v148
	s_delay_alu instid0(VALU_DEP_4) | instskip(NEXT) | instid1(VALU_DEP_4)
	v_fmamk_f32 v82, v149, 0xbf52af12, v108
	v_fmamk_f32 v65, v149, 0xbeedf032, v100
	s_delay_alu instid0(VALU_DEP_4) | instskip(SKIP_3) | instid1(VALU_DEP_4)
	v_fma_f32 v81, 0x3f116cb1, v120, -v105
	v_mul_f32_e32 v99, 0xbeedf032, v146
	v_dual_mul_f32 v116, 0x3df6dbef, v123 :: v_dual_sub_f32 v151, v54, v40
	v_dual_add_f32 v82, v80, v82 :: v_dual_mul_f32 v109, 0xbf6f5d39, v148
	v_add_f32_e32 v81, v79, v81
	s_delay_alu instid0(VALU_DEP_4)
	v_fma_f32 v64, 0x3f62ad3f, v120, -v99
	v_add_f32_e32 v65, v80, v65
	v_fma_f32 v103, 0x3f116cb1, v126, -v101
	v_fma_f32 v106, 0xbeb58ec6, v126, -v109
	v_dual_mul_f32 v102, 0x3f116cb1, v131 :: v_dual_sub_f32 v153, v56, v46
	v_add_f32_e32 v64, v79, v64
	s_delay_alu instid0(VALU_DEP_3) | instskip(NEXT) | instid1(VALU_DEP_3)
	v_dual_mul_f32 v112, 0xbf7e222b, v146 :: v_dual_add_f32 v81, v106, v81
	v_fmamk_f32 v104, v151, 0xbf52af12, v102
	v_fmamk_f32 v84, v149, 0xbf7e222b, v116
	s_delay_alu instid0(VALU_DEP_4) | instskip(SKIP_1) | instid1(VALU_DEP_4)
	v_dual_mul_f32 v113, 0xbeb58ec6, v131 :: v_dual_add_f32 v64, v103, v64
	v_mul_f32_e32 v127, 0xbf788fa5, v131
	v_add_f32_e32 v65, v104, v65
	s_delay_alu instid0(VALU_DEP_3) | instskip(SKIP_3) | instid1(VALU_DEP_4)
	v_dual_add_f32 v84, v80, v84 :: v_dual_fmamk_f32 v103, v151, 0xbf6f5d39, v113
	v_dual_sub_f32 v150, v57, v47 :: v_dual_add_f32 v135, v47, v57
	v_add_f32_e32 v130, v46, v56
	v_fma_f32 v83, 0x3df6dbef, v120, -v112
	v_add_f32_e32 v82, v103, v82
	s_delay_alu instid0(VALU_DEP_4) | instskip(SKIP_1) | instid1(VALU_DEP_4)
	v_dual_mul_f32 v124, 0x3f6f5d39, v150 :: v_dual_add_f32 v137, v45, v59
	v_mul_f32_e32 v117, 0xbf788fa5, v135
	v_dual_mul_f32 v114, 0xbe750f2a, v150 :: v_dual_add_f32 v83, v79, v83
	v_mul_f32_e32 v118, 0xbe750f2a, v148
	v_mul_f32_e32 v104, 0x3df6dbef, v135
	s_delay_alu instid0(VALU_DEP_4) | instskip(NEXT) | instid1(VALU_DEP_4)
	v_fmamk_f32 v111, v153, 0xbe750f2a, v117
	v_fma_f32 v110, 0xbf788fa5, v130, -v114
	v_fmamk_f32 v106, v151, 0xbe750f2a, v127
	v_fma_f32 v107, 0xbf788fa5, v126, -v118
	v_dual_mul_f32 v134, 0xbeb58ec6, v135 :: v_dual_sub_f32 v155, v58, v44
	s_delay_alu instid0(VALU_DEP_4) | instskip(NEXT) | instid1(VALU_DEP_4)
	v_add_f32_e32 v81, v110, v81
	v_dual_mul_f32 v103, 0xbf7e222b, v150 :: v_dual_add_f32 v84, v106, v84
	s_delay_alu instid0(VALU_DEP_4) | instskip(SKIP_1) | instid1(VALU_DEP_3)
	v_add_f32_e32 v83, v107, v83
	v_dual_fmamk_f32 v107, v153, 0xbf7e222b, v104 :: v_dual_add_f32 v82, v111, v82
	v_fma_f32 v106, 0x3df6dbef, v130, -v103
	v_add_f32_e32 v136, v44, v58
	global_wb scope:SCOPE_SE
	v_add_f32_e32 v65, v107, v65
	v_dual_mul_f32 v107, 0xbeb58ec6, v137 :: v_dual_add_f32 v64, v106, v64
	v_fma_f32 v106, 0xbeb58ec6, v130, -v124
	v_sub_f32_e32 v152, v59, v45
	s_delay_alu instid0(VALU_DEP_3) | instskip(NEXT) | instid1(VALU_DEP_3)
	v_dual_sub_f32 v154, v61, v51 :: v_dual_fmamk_f32 v115, v155, 0xbf6f5d39, v107
	v_dual_fmamk_f32 v110, v153, 0x3f6f5d39, v134 :: v_dual_add_f32 v83, v106, v83
	s_delay_alu instid0(VALU_DEP_3) | instskip(SKIP_1) | instid1(VALU_DEP_4)
	v_mul_f32_e32 v106, 0xbf6f5d39, v152
	v_mul_f32_e32 v129, 0x3eedf032, v152
	v_add_f32_e32 v65, v115, v65
	s_delay_alu instid0(VALU_DEP_4) | instskip(SKIP_3) | instid1(VALU_DEP_4)
	v_dual_mul_f32 v125, 0xbf3f9e67, v137 :: v_dual_add_f32 v84, v110, v84
	v_mul_f32_e32 v122, 0x3f29c268, v152
	v_fma_f32 v111, 0xbeb58ec6, v136, -v106
	v_add_f32_e32 v142, v51, v61
	v_fmamk_f32 v121, v155, 0x3f29c268, v125
	v_fma_f32 v115, 0x3f62ad3f, v136, -v129
	v_fma_f32 v119, 0xbf3f9e67, v136, -v122
	v_mul_f32_e32 v110, 0xbf29c268, v154
	v_dual_add_f32 v64, v111, v64 :: v_dual_mul_f32 v139, 0x3f62ad3f, v137
	s_delay_alu instid0(VALU_DEP_3) | instskip(SKIP_4) | instid1(VALU_DEP_4)
	v_dual_add_f32 v82, v121, v82 :: v_dual_add_f32 v81, v119, v81
	v_dual_mul_f32 v121, 0x3f7e222b, v154 :: v_dual_add_f32 v140, v50, v60
	v_mul_f32_e32 v111, 0xbf3f9e67, v142
	v_dual_add_f32 v83, v115, v83 :: v_dual_sub_f32 v156, v60, v50
	v_fmamk_f32 v119, v155, 0x3eedf032, v139
	v_fma_f32 v128, 0xbf3f9e67, v140, -v110
	v_fma_f32 v115, 0x3df6dbef, v140, -v121
	v_mul_f32_e32 v133, 0x3df6dbef, v142
	v_dual_fmamk_f32 v132, v156, 0xbf29c268, v111 :: v_dual_sub_f32 v157, v63, v49
	v_mul_f32_e32 v138, 0xbf52af12, v154
	s_delay_alu instid0(VALU_DEP_4) | instskip(NEXT) | instid1(VALU_DEP_3)
	v_dual_add_f32 v64, v128, v64 :: v_dual_add_f32 v81, v115, v81
	v_dual_add_f32 v84, v119, v84 :: v_dual_add_f32 v65, v132, v65
	v_dual_mul_f32 v144, 0x3f116cb1, v142 :: v_dual_add_f32 v147, v49, v63
	v_dual_fmamk_f32 v119, v156, 0x3f7e222b, v133 :: v_dual_sub_f32 v158, v62, v48
	v_add_f32_e32 v143, v48, v62
	v_mul_f32_e32 v115, 0xbe750f2a, v157
	v_fma_f32 v128, 0x3f116cb1, v140, -v138
	s_delay_alu instid0(VALU_DEP_4) | instskip(SKIP_1) | instid1(VALU_DEP_3)
	v_dual_add_f32 v82, v119, v82 :: v_dual_mul_f32 v119, 0xbf788fa5, v147
	s_barrier_signal -1
	v_fma_f32 v141, 0xbf788fa5, v143, -v115
	s_delay_alu instid0(VALU_DEP_3) | instskip(NEXT) | instid1(VALU_DEP_3)
	v_dual_add_f32 v159, v128, v83 :: v_dual_mul_f32 v128, 0x3eedf032, v157
	v_fmamk_f32 v83, v158, 0xbe750f2a, v119
	v_fmamk_f32 v132, v156, 0xbf52af12, v144
	s_delay_alu instid0(VALU_DEP_4) | instskip(SKIP_1) | instid1(VALU_DEP_2)
	v_dual_add_f32 v64, v141, v64 :: v_dual_mul_f32 v141, 0xbf29c268, v157
	s_barrier_wait -1
	v_dual_add_f32 v65, v83, v65 :: v_dual_add_f32 v160, v132, v84
	v_mul_f32_e32 v145, 0xbf3f9e67, v147
	v_fma_f32 v84, 0x3f62ad3f, v143, -v128
	v_mul_f32_e32 v132, 0x3f62ad3f, v147
	v_fma_f32 v162, 0xbf3f9e67, v143, -v141
	global_inv scope:SCOPE_SE
	v_fmamk_f32 v163, v158, 0xbf29c268, v145
	v_add_f32_e32 v83, v84, v81
	v_fmamk_f32 v161, v158, 0x3eedf032, v132
	s_delay_alu instid0(VALU_DEP_1) | instskip(NEXT) | instid1(VALU_DEP_4)
	v_dual_add_f32 v81, v162, v159 :: v_dual_add_f32 v84, v161, v82
	v_add_f32_e32 v82, v163, v160
	s_and_saveexec_b32 s1, vcc_lo
	s_cbranch_execz .LBB0_17
; %bb.16:
	v_dual_mul_f32 v170, 0xbf6f5d39, v151 :: v_dual_mul_f32 v183, 0xbf6f5d39, v149
	v_mul_f32_e32 v208, 0xbf29c268, v149
	v_mul_f32_e32 v188, 0x3f29c268, v151
	v_mul_f32_e32 v181, 0xbf3f9e67, v136
	v_dual_mul_f32 v185, 0x3eedf032, v155 :: v_dual_mul_f32 v192, 0x3eedf032, v153
	s_delay_alu instid0(VALU_DEP_4)
	v_fmamk_f32 v210, v123, 0xbf3f9e67, v208
	v_fmamk_f32 v159, v123, 0xbeb58ec6, v183
	;; [unrolled: 1-line block ×3, first 2 shown]
	v_mul_f32_e32 v161, 0x3f62ad3f, v120
	v_dual_mul_f32 v180, 0xbf6f5d39, v155 :: v_dual_mul_f32 v199, 0xbf6f5d39, v146
	v_add_f32_e32 v210, v80, v210
	v_dual_mul_f32 v162, 0xbeedf032, v149 :: v_dual_add_f32 v159, v80, v159
	v_mul_f32_e32 v166, 0xbf7e222b, v149
	v_dual_mul_f32 v190, 0x3f7e222b, v156 :: v_dual_mul_f32 v211, 0x3f7e222b, v151
	v_mul_f32_e32 v196, 0xbf7e222b, v155
	s_delay_alu instid0(VALU_DEP_4) | instskip(SKIP_3) | instid1(VALU_DEP_4)
	v_dual_add_f32 v159, v160, v159 :: v_dual_fmamk_f32 v160, v135, 0x3f62ad3f, v192
	v_dual_mul_f32 v164, 0xbf52af12, v149 :: v_dual_mul_f32 v193, 0xbf52af12, v156
	v_mul_f32_e32 v165, 0x3df6dbef, v120
	v_dual_mul_f32 v172, 0xbe750f2a, v151 :: v_dual_mul_f32 v195, 0xbe750f2a, v158
	v_dual_mul_f32 v174, 0xbf7e222b, v153 :: v_dual_add_f32 v159, v160, v159
	v_dual_mul_f32 v182, 0x3f29c268, v155 :: v_dual_mul_f32 v203, 0x3f29c268, v148
	v_fmamk_f32 v160, v137, 0x3df6dbef, v196
	v_mul_f32_e32 v200, 0x3e750f2a, v156
	v_fma_f32 v202, 0xbeb58ec6, v120, -v199
	v_fmamk_f32 v213, v131, 0x3df6dbef, v211
	v_mul_f32_e32 v168, 0xbf52af12, v151
	v_dual_mul_f32 v216, 0x3eedf032, v156 :: v_dual_mul_f32 v151, 0x3eedf032, v151
	v_mul_f32_e32 v149, 0xbe750f2a, v149
	v_dual_mul_f32 v163, 0x3f116cb1, v120 :: v_dual_add_f32 v202, v79, v202
	v_mul_f32_e32 v175, 0xbf788fa5, v130
	v_dual_mul_f32 v176, 0xbe750f2a, v153 :: v_dual_add_f32 v159, v160, v159
	v_fmamk_f32 v160, v142, 0xbf788fa5, v200
	v_fma_f32 v205, 0xbf3f9e67, v126, -v203
	v_dual_fmamk_f32 v220, v142, 0x3f62ad3f, v216 :: v_dual_fmamk_f32 v225, v131, 0x3f62ad3f, v151
	v_mul_f32_e32 v206, 0x3eedf032, v150
	v_fmamk_f32 v223, v123, 0xbf788fa5, v149
	v_dual_mul_f32 v178, 0x3f6f5d39, v153 :: v_dual_add_f32 v159, v160, v159
	v_dual_mul_f32 v179, 0xbeb58ec6, v136 :: v_dual_add_f32 v160, v205, v202
	s_delay_alu instid0(VALU_DEP_4) | instskip(SKIP_3) | instid1(VALU_DEP_4)
	v_fma_f32 v202, 0x3f62ad3f, v130, -v206
	v_mul_f32_e32 v205, 0xbf7e222b, v152
	v_dual_add_f32 v223, v80, v223 :: v_dual_mul_f32 v214, 0xbf52af12, v153
	v_mul_f32_e32 v153, 0xbf29c268, v153
	v_dual_mul_f32 v167, 0x3f116cb1, v126 :: v_dual_add_f32 v160, v202, v160
	s_delay_alu instid0(VALU_DEP_4)
	v_fma_f32 v202, 0x3df6dbef, v136, -v205
	v_dual_mul_f32 v212, 0x3e750f2a, v154 :: v_dual_mul_f32 v221, 0x3e750f2a, v152
	v_add_f32_e32 v223, v225, v223
	v_fmamk_f32 v225, v135, 0xbf3f9e67, v153
	v_mul_f32_e32 v207, 0x3f52af12, v158
	v_dual_mul_f32 v169, 0xbeb58ec6, v126 :: v_dual_add_f32 v202, v202, v160
	v_fma_f32 v215, 0xbf788fa5, v140, -v212
	v_mul_f32_e32 v219, 0x3f7e222b, v148
	v_dual_mul_f32 v224, 0x3eedf032, v154 :: v_dual_mul_f32 v227, 0x3eedf032, v148
	v_dual_add_f32 v148, v225, v223 :: v_dual_fmamk_f32 v209, v147, 0x3f116cb1, v207
	v_mul_f32_e32 v173, 0x3df6dbef, v130
	v_dual_mul_f32 v189, 0x3df6dbef, v140 :: v_dual_add_f32 v202, v215, v202
	s_delay_alu instid0(VALU_DEP_3)
	v_dual_mul_f32 v215, 0xbf29c268, v146 :: v_dual_add_f32 v160, v209, v159
	v_add_f32_e32 v159, v213, v210
	v_fmamk_f32 v209, v135, 0x3f116cb1, v214
	v_mul_f32_e32 v210, 0x3e750f2a, v155
	v_mul_f32_e32 v213, 0x3f52af12, v157
	v_dual_mul_f32 v155, 0x3f52af12, v155 :: v_dual_mul_f32 v152, 0x3f52af12, v152
	s_delay_alu instid0(VALU_DEP_4) | instskip(NEXT) | instid1(VALU_DEP_3)
	v_dual_mul_f32 v198, 0x3eedf032, v158 :: v_dual_add_f32 v159, v209, v159
	v_fma_f32 v217, 0x3f116cb1, v143, -v213
	v_fma_f32 v218, 0xbf3f9e67, v120, -v215
	s_delay_alu instid0(VALU_DEP_4) | instskip(SKIP_4) | instid1(VALU_DEP_4)
	v_fmamk_f32 v223, v137, 0x3f116cb1, v155
	v_fmamk_f32 v209, v137, 0xbf788fa5, v210
	v_mul_f32_e32 v191, 0x3f116cb1, v140
	v_fma_f32 v149, 0xbf788fa5, v123, -v149
	v_fma_f32 v151, 0x3f62ad3f, v131, -v151
	v_dual_add_f32 v148, v223, v148 :: v_dual_add_f32 v209, v209, v159
	v_add_f32_e32 v159, v217, v202
	v_add_f32_e32 v202, v79, v218
	v_fma_f32 v217, 0x3df6dbef, v126, -v219
	s_delay_alu instid0(VALU_DEP_4) | instskip(SKIP_1) | instid1(VALU_DEP_3)
	v_dual_mul_f32 v218, 0xbf52af12, v150 :: v_dual_add_f32 v209, v220, v209
	v_dual_mul_f32 v220, 0xbf6f5d39, v158 :: v_dual_add_f32 v149, v80, v149
	v_add_f32_e32 v202, v217, v202
	s_delay_alu instid0(VALU_DEP_3) | instskip(NEXT) | instid1(VALU_DEP_3)
	v_fma_f32 v217, 0x3f116cb1, v130, -v218
	v_dual_mul_f32 v177, 0xbeb58ec6, v130 :: v_dual_fmamk_f32 v222, v147, 0xbeb58ec6, v220
	v_dual_mul_f32 v150, 0xbf29c268, v150 :: v_dual_mul_f32 v187, 0xbf29c268, v156
	v_mul_f32_e32 v204, 0xbf29c268, v158
	s_delay_alu instid0(VALU_DEP_4) | instskip(SKIP_4) | instid1(VALU_DEP_4)
	v_add_f32_e32 v202, v217, v202
	v_fma_f32 v217, 0xbf788fa5, v136, -v221
	v_dual_mul_f32 v223, 0xbf6f5d39, v157 :: v_dual_mul_f32 v156, 0xbf6f5d39, v156
	v_add_f32_e32 v149, v151, v149
	v_fma_f32 v151, 0xbf3f9e67, v135, -v153
	v_add_f32_e32 v202, v217, v202
	v_mul_f32_e32 v217, 0xbe750f2a, v146
	v_fma_f32 v146, 0x3f62ad3f, v140, -v224
	s_delay_alu instid0(VALU_DEP_4) | instskip(SKIP_1) | instid1(VALU_DEP_4)
	v_dual_mul_f32 v158, 0x3f7e222b, v158 :: v_dual_add_f32 v149, v151, v149
	v_fmac_f32_e32 v215, 0xbf3f9e67, v120
	v_fma_f32 v226, 0xbf788fa5, v120, -v217
	s_delay_alu instid0(VALU_DEP_4)
	v_add_f32_e32 v202, v146, v202
	v_add_f32_e32 v146, v222, v209
	v_fma_f32 v222, 0xbf3f9e67, v130, -v150
	v_fmac_f32_e32 v150, 0xbf3f9e67, v130
	v_add_f32_e32 v225, v79, v226
	v_fma_f32 v226, 0x3f62ad3f, v126, -v227
	v_fmac_f32_e32 v227, 0x3f62ad3f, v126
	v_mul_f32_e32 v153, 0xbf6f5d39, v154
	v_mul_f32_e32 v157, 0x3f7e222b, v157
	v_fma_f32 v155, 0x3f116cb1, v137, -v155
	v_add_f32_e32 v209, v226, v225
	v_fmac_f32_e32 v199, 0xbeb58ec6, v120
	v_fma_f32 v151, 0xbeb58ec6, v140, -v153
	v_fmac_f32_e32 v219, 0x3df6dbef, v126
	v_dual_add_f32 v155, v155, v149 :: v_dual_fmac_f32 v218, 0x3f116cb1, v130
	v_add_f32_e32 v209, v222, v209
	v_fma_f32 v222, 0x3f116cb1, v136, -v152
	v_fmac_f32_e32 v152, 0x3f116cb1, v136
	v_dual_fmac_f32 v221, 0xbf788fa5, v136 :: v_dual_sub_f32 v116, v116, v166
	v_fmac_f32_e32 v224, 0x3f62ad3f, v140
	s_delay_alu instid0(VALU_DEP_4) | instskip(SKIP_3) | instid1(VALU_DEP_3)
	v_add_f32_e32 v154, v222, v209
	v_fmamk_f32 v209, v142, 0xbeb58ec6, v156
	v_fma_f32 v156, 0xbeb58ec6, v142, -v156
	v_dual_mul_f32 v171, 0xbf788fa5, v126 :: v_dual_mul_f32 v194, 0xbf788fa5, v143
	v_dual_add_f32 v151, v151, v154 :: v_dual_add_f32 v148, v209, v148
	v_fmamk_f32 v209, v147, 0x3df6dbef, v158
	v_fma_f32 v154, 0x3df6dbef, v143, -v157
	v_dual_mul_f32 v184, 0x3f62ad3f, v136 :: v_dual_mul_f32 v197, 0x3f62ad3f, v143
	s_delay_alu instid0(VALU_DEP_3) | instskip(NEXT) | instid1(VALU_DEP_3)
	v_dual_fmac_f32 v206, 0x3f62ad3f, v130 :: v_dual_add_f32 v149, v209, v148
	v_dual_add_f32 v148, v154, v151 :: v_dual_fmac_f32 v217, 0xbf788fa5, v120
	v_fma_f32 v151, 0xbf3f9e67, v123, -v208
	v_add_f32_e32 v154, v156, v155
	v_fma_f32 v155, 0x3df6dbef, v147, -v158
	v_fma_f32 v208, 0x3df6dbef, v131, -v211
	v_add_f32_e32 v156, v79, v217
	v_add_f32_e32 v158, v80, v151
	v_fma_f32 v123, 0xbeb58ec6, v123, -v183
	v_dual_add_f32 v151, v155, v154 :: v_dual_add_f32 v116, v80, v116
	s_delay_alu instid0(VALU_DEP_3) | instskip(SKIP_1) | instid1(VALU_DEP_4)
	v_dual_add_f32 v154, v227, v156 :: v_dual_add_f32 v155, v208, v158
	v_fma_f32 v156, 0x3f116cb1, v135, -v214
	v_add_f32_e32 v123, v80, v123
	v_fma_f32 v135, 0x3f62ad3f, v135, -v192
	s_delay_alu instid0(VALU_DEP_4) | instskip(NEXT) | instid1(VALU_DEP_4)
	v_dual_add_f32 v150, v150, v154 :: v_dual_fmac_f32 v157, 0x3df6dbef, v143
	v_add_f32_e32 v154, v156, v155
	v_fma_f32 v155, 0xbf788fa5, v137, -v210
	s_delay_alu instid0(VALU_DEP_3) | instskip(SKIP_1) | instid1(VALU_DEP_3)
	v_dual_sub_f32 v127, v127, v172 :: v_dual_add_f32 v150, v152, v150
	v_dual_fmac_f32 v205, 0x3df6dbef, v136 :: v_dual_add_f32 v118, v171, v118
	v_add_f32_e32 v152, v155, v154
	v_add_f32_e32 v158, v79, v215
	v_fma_f32 v154, 0x3f62ad3f, v142, -v216
	v_dual_fmac_f32 v203, 0xbf3f9e67, v126 :: v_dual_add_f32 v116, v127, v116
	v_fma_f32 v126, 0x3df6dbef, v137, -v196
	s_delay_alu instid0(VALU_DEP_4) | instskip(NEXT) | instid1(VALU_DEP_4)
	v_add_f32_e32 v156, v219, v158
	v_add_f32_e32 v152, v154, v152
	v_sub_f32_e32 v127, v134, v178
	v_fma_f32 v225, 0xbeb58ec6, v143, -v223
	v_fmac_f32_e32 v223, 0xbeb58ec6, v143
	v_add_f32_e32 v155, v218, v156
	v_fmac_f32_e32 v212, 0xbf788fa5, v140
	v_add_f32_e32 v116, v127, v116
	v_dual_sub_f32 v127, v139, v185 :: v_dual_sub_f32 v108, v108, v164
	s_delay_alu instid0(VALU_DEP_4) | instskip(SKIP_2) | instid1(VALU_DEP_4)
	v_add_f32_e32 v154, v221, v155
	v_fma_f32 v155, 0xbf3f9e67, v131, -v188
	v_fmac_f32_e32 v153, 0xbeb58ec6, v140
	v_add_f32_e32 v116, v127, v116
	v_dual_add_f32 v108, v80, v108 :: v_dual_add_f32 v109, v169, v109
	s_delay_alu instid0(VALU_DEP_4) | instskip(NEXT) | instid1(VALU_DEP_4)
	v_dual_add_f32 v123, v155, v123 :: v_dual_add_f32 v120, v224, v154
	v_add_f32_e32 v150, v153, v150
	v_fma_f32 v153, 0xbeb58ec6, v147, -v220
	v_sub_f32_e32 v113, v113, v170
	s_delay_alu instid0(VALU_DEP_4) | instskip(SKIP_2) | instid1(VALU_DEP_3)
	v_add_f32_e32 v123, v135, v123
	v_dual_add_f32 v105, v163, v105 :: v_dual_add_f32 v124, v177, v124
	v_add_f32_e32 v52, v52, v79
	v_dual_add_f32 v108, v113, v108 :: v_dual_add_f32 v123, v126, v123
	v_fma_f32 v126, 0xbf788fa5, v142, -v200
	v_sub_f32_e32 v113, v117, v176
	v_add_f32_e32 v105, v79, v105
	v_add_f32_e32 v117, v191, v138
	;; [unrolled: 1-line block ×4, first 2 shown]
	v_fma_f32 v126, 0x3f116cb1, v147, -v207
	v_dual_add_f32 v131, v153, v152 :: v_dual_add_f32 v152, v79, v199
	v_dual_add_f32 v105, v109, v105 :: v_dual_add_f32 v54, v54, v52
	v_dual_add_f32 v109, v175, v114 :: v_dual_add_f32 v108, v113, v108
	s_delay_alu instid0(VALU_DEP_3) | instskip(SKIP_1) | instid1(VALU_DEP_3)
	v_add_f32_e32 v135, v203, v152
	v_sub_f32_e32 v113, v125, v182
	v_dual_add_f32 v54, v56, v54 :: v_dual_add_f32 v105, v109, v105
	v_sub_f32_e32 v56, v100, v162
	s_delay_alu instid0(VALU_DEP_4) | instskip(NEXT) | instid1(VALU_DEP_4)
	v_add_f32_e32 v130, v206, v135
	v_add_f32_e32 v108, v113, v108
	v_sub_f32_e32 v113, v133, v190
	s_delay_alu instid0(VALU_DEP_4) | instskip(NEXT) | instid1(VALU_DEP_4)
	v_dual_add_f32 v109, v181, v122 :: v_dual_add_f32 v56, v80, v56
	v_add_f32_e32 v134, v205, v130
	v_add_f32_e32 v130, v223, v120
	;; [unrolled: 1-line block ×4, first 2 shown]
	v_sub_f32_e32 v126, v144, v193
	v_add_f32_e32 v123, v212, v134
	s_delay_alu instid0(VALU_DEP_4) | instskip(NEXT) | instid1(VALU_DEP_3)
	v_dual_fmac_f32 v213, 0x3f116cb1, v143 :: v_dual_add_f32 v120, v79, v120
	v_dual_add_f32 v53, v55, v53 :: v_dual_add_f32 v116, v126, v116
	v_sub_f32_e32 v126, v145, v204
	v_dual_mul_f32 v186, 0xbf3f9e67, v140 :: v_dual_mul_f32 v201, 0xbf3f9e67, v143
	s_delay_alu instid0(VALU_DEP_4) | instskip(SKIP_1) | instid1(VALU_DEP_4)
	v_dual_add_f32 v120, v118, v120 :: v_dual_add_f32 v105, v109, v105
	v_add_f32_e32 v54, v58, v54
	v_add_f32_e32 v118, v126, v116
	v_add_f32_e32 v58, v161, v99
	s_delay_alu instid0(VALU_DEP_4) | instskip(SKIP_4) | instid1(VALU_DEP_3)
	v_add_f32_e32 v116, v124, v120
	v_add_f32_e32 v120, v184, v129
	;; [unrolled: 1-line block ×3, first 2 shown]
	v_dual_add_f32 v55, v189, v121 :: v_dual_add_f32 v54, v60, v54
	v_add_f32_e32 v58, v79, v58
	v_dual_add_f32 v116, v120, v116 :: v_dual_add_f32 v53, v59, v53
	v_sub_f32_e32 v59, v102, v168
	s_delay_alu instid0(VALU_DEP_4) | instskip(NEXT) | instid1(VALU_DEP_3)
	v_dual_add_f32 v54, v62, v54 :: v_dual_add_f32 v55, v55, v105
	v_add_f32_e32 v114, v117, v116
	v_add_f32_e32 v116, v201, v141
	s_delay_alu instid0(VALU_DEP_4) | instskip(SKIP_1) | instid1(VALU_DEP_3)
	v_dual_add_f32 v53, v61, v53 :: v_dual_add_f32 v56, v59, v56
	v_dual_add_f32 v57, v197, v128 :: v_dual_add_f32 v60, v167, v101
	;; [unrolled: 1-line block ×3, first 2 shown]
	v_sub_f32_e32 v113, v132, v198
	s_delay_alu instid0(VALU_DEP_4)
	v_add_f32_e32 v53, v63, v53
	v_sub_f32_e32 v59, v104, v174
	v_add_f32_e32 v58, v60, v58
	v_add_f32_e32 v60, v173, v103
	;; [unrolled: 1-line block ×3, first 2 shown]
	v_dual_add_f32 v49, v49, v53 :: v_dual_add_f32 v48, v48, v54
	v_add_f32_e32 v53, v59, v56
	v_add_f32_e32 v145, v225, v202
	s_delay_alu instid0(VALU_DEP_3) | instskip(SKIP_1) | instid1(VALU_DEP_2)
	v_dual_add_f32 v150, v157, v150 :: v_dual_add_f32 v49, v51, v49
	v_sub_f32_e32 v54, v107, v180
	v_dual_add_f32 v48, v50, v48 :: v_dual_add_f32 v45, v45, v49
	s_delay_alu instid0(VALU_DEP_2) | instskip(NEXT) | instid1(VALU_DEP_2)
	v_dual_add_f32 v56, v60, v58 :: v_dual_add_f32 v51, v54, v53
	v_dual_sub_f32 v53, v111, v187 :: v_dual_add_f32 v44, v44, v48
	v_add_f32_e32 v49, v186, v110
	v_add_f32_e32 v50, v179, v106
	;; [unrolled: 1-line block ×3, first 2 shown]
	s_delay_alu instid0(VALU_DEP_4) | instskip(SKIP_1) | instid1(VALU_DEP_4)
	v_dual_add_f32 v111, v213, v123 :: v_dual_add_f32 v44, v46, v44
	v_sub_f32_e32 v46, v119, v195
	v_add_f32_e32 v48, v50, v56
	v_add_f32_e32 v50, v53, v51
	;; [unrolled: 1-line block ×4, first 2 shown]
	s_delay_alu instid0(VALU_DEP_4) | instskip(SKIP_1) | instid1(VALU_DEP_4)
	v_add_f32_e32 v47, v49, v48
	v_dual_add_f32 v48, v194, v115 :: v_dual_and_b32 v49, 0xffff, v88
	v_dual_add_f32 v43, v43, v45 :: v_dual_add_f32 v44, v40, v44
	s_delay_alu instid0(VALU_DEP_2) | instskip(NEXT) | instid1(VALU_DEP_2)
	v_dual_add_f32 v41, v46, v50 :: v_dual_add_f32 v40, v48, v47
	v_add_f32_e32 v42, v42, v44
	s_delay_alu instid0(VALU_DEP_4)
	v_lshl_add_u32 v44, v49, 3, v87
	ds_store_2addr_b64 v44, v[42:43], v[40:41] offset1:1
	ds_store_2addr_b64 v44, v[51:52], v[117:118] offset0:2 offset1:3
	ds_store_2addr_b64 v44, v[111:112], v[130:131] offset0:4 offset1:5
	;; [unrolled: 1-line block ×5, first 2 shown]
	ds_store_b64 v44, v[64:65] offset:96
.LBB0_17:
	s_wait_alu 0xfffe
	s_or_b32 exec_lo, exec_lo, s1
	v_add_nc_u32_e32 v46, 0x800, v89
	v_add_nc_u32_e32 v62, 0x1000, v89
	;; [unrolled: 1-line block ×3, first 2 shown]
	global_wb scope:SCOPE_SE
	s_wait_dscnt 0x0
	s_barrier_signal -1
	s_barrier_wait -1
	global_inv scope:SCOPE_SE
	ds_load_2addr_b64 v[42:45], v46 offset0:108 offset1:199
	ds_load_2addr_b64 v[47:50], v62 offset0:34 offset1:125
	;; [unrolled: 1-line block ×3, first 2 shown]
	s_wait_dscnt 0x1
	v_mul_f32_e32 v61, v76, v50
	v_dual_mul_f32 v59, v74, v48 :: v_dual_add_nc_u32 v40, 0x400, v89
	v_dual_mul_f32 v41, v68, v44 :: v_dual_mul_f32 v60, v74, v47
	v_mul_f32_e32 v63, v76, v49
	s_delay_alu instid0(VALU_DEP_3)
	v_fmac_f32_e32 v59, v73, v47
	ds_load_2addr_b64 v[55:58], v89 offset1:91
	ds_load_2addr_b64 v[99:102], v40 offset0:54 offset1:145
	v_mul_f32_e32 v40, v68, v45
	s_wait_dscnt 0x2
	v_dual_mul_f32 v68, v72, v52 :: v_dual_fmac_f32 v61, v75, v49
	v_mul_f32_e32 v74, v70, v54
	v_mul_f32_e32 v70, v70, v53
	v_fma_f32 v41, v67, v45, -v41
	v_fma_f32 v45, v75, v50, -v63
	global_wb scope:SCOPE_SE
	s_wait_dscnt 0x0
	s_barrier_signal -1
	v_fma_f32 v63, v69, v54, -v70
	s_barrier_wait -1
	global_inv scope:SCOPE_SE
	v_dual_sub_f32 v49, v57, v59 :: v_dual_fmac_f32 v40, v67, v44
	v_mul_f32_e32 v72, v72, v51
	v_fma_f32 v44, v73, v48, -v60
	s_delay_alu instid0(VALU_DEP_3) | instskip(NEXT) | instid1(VALU_DEP_3)
	v_dual_sub_f32 v48, v56, v41 :: v_dual_sub_f32 v47, v55, v40
	v_fma_f32 v60, v71, v52, -v72
	v_fmac_f32_e32 v68, v71, v51
	v_sub_f32_e32 v51, v99, v61
	v_fmac_f32_e32 v74, v69, v53
	v_sub_f32_e32 v50, v58, v44
	v_dual_sub_f32 v41, v102, v60 :: v_dual_sub_f32 v52, v100, v45
	v_sub_f32_e32 v40, v101, v68
	s_delay_alu instid0(VALU_DEP_4)
	v_dual_sub_f32 v44, v42, v74 :: v_dual_sub_f32 v45, v43, v63
	v_fma_f32 v53, v55, 2.0, -v47
	v_fma_f32 v54, v56, 2.0, -v48
	;; [unrolled: 1-line block ×10, first 2 shown]
	ds_store_2addr_b64 v95, v[53:54], v[47:48] offset1:13
	ds_store_2addr_b64 v97, v[55:56], v[49:50] offset1:13
	;; [unrolled: 1-line block ×5, first 2 shown]
	global_wb scope:SCOPE_SE
	s_wait_dscnt 0x0
	s_barrier_signal -1
	s_barrier_wait -1
	global_inv scope:SCOPE_SE
	ds_load_2addr_b64 v[48:51], v89 offset1:130
	ds_load_2addr_b64 v[56:59], v46 offset0:4 offset1:134
	ds_load_2addr_b64 v[52:55], v62 offset0:8 offset1:138
	ds_load_b64 v[60:61], v89 offset:6240
	s_and_saveexec_b32 s1, s0
	s_cbranch_execz .LBB0_19
; %bb.18:
	ds_load_2addr_b64 v[44:47], v46 offset0:95 offset1:225
	ds_load_2addr_b64 v[62:65], v62 offset0:99 offset1:229
	;; [unrolled: 1-line block ×3, first 2 shown]
	ds_load_b64 v[77:78], v89 offset:6968
	s_wait_dscnt 0x3
	v_dual_mov_b32 v81, v46 :: v_dual_mov_b32 v82, v47
	s_wait_dscnt 0x2
	v_dual_mov_b32 v83, v62 :: v_dual_mov_b32 v84, v63
.LBB0_19:
	s_wait_alu 0xfffe
	s_or_b32 exec_lo, exec_lo, s1
	s_wait_dscnt 0x3
	v_mul_f32_e32 v46, v21, v51
	s_wait_dscnt 0x2
	v_dual_mul_f32 v47, v21, v50 :: v_dual_mul_f32 v62, v23, v57
	v_add_nc_u32_e32 v21, 0x2d8, v92
	global_wb scope:SCOPE_SE
	s_wait_dscnt 0x0
	v_dual_fmac_f32 v46, v20, v50 :: v_dual_mul_f32 v23, v23, v56
	v_fma_f32 v20, v20, v51, -v47
	v_dual_mul_f32 v47, v17, v59 :: v_dual_mul_f32 v50, v19, v53
	v_dual_mul_f32 v17, v17, v58 :: v_dual_fmac_f32 v62, v22, v56
	s_delay_alu instid0(VALU_DEP_4) | instskip(NEXT) | instid1(VALU_DEP_3)
	v_fma_f32 v22, v22, v57, -v23
	v_dual_fmac_f32 v47, v16, v58 :: v_dual_fmac_f32 v50, v18, v52
	s_delay_alu instid0(VALU_DEP_3)
	v_fma_f32 v16, v16, v59, -v17
	v_mul_f32_e32 v17, v15, v61
	v_mul_f32_e32 v15, v15, v60
	;; [unrolled: 1-line block ×5, first 2 shown]
	v_fmac_f32_e32 v17, v14, v60
	v_fma_f32 v14, v14, v61, -v15
	v_fma_f32 v15, v18, v53, -v19
	v_fmac_f32_e32 v23, v12, v54
	v_fma_f32 v12, v12, v55, -v13
	s_barrier_signal -1
	v_add_f32_e32 v18, v20, v14
	v_sub_f32_e32 v14, v20, v14
	s_barrier_wait -1
	v_add_f32_e32 v20, v22, v12
	v_sub_f32_e32 v12, v22, v12
	v_dual_add_f32 v22, v47, v50 :: v_dual_add_f32 v13, v46, v17
	s_delay_alu instid0(VALU_DEP_3)
	v_dual_sub_f32 v17, v46, v17 :: v_dual_sub_f32 v52, v20, v18
	v_add_f32_e32 v46, v16, v15
	v_sub_f32_e32 v47, v50, v47
	v_dual_sub_f32 v15, v15, v16 :: v_dual_add_f32 v50, v20, v18
	global_inv scope:SCOPE_SE
	v_sub_f32_e32 v18, v18, v46
	v_dual_add_f32 v19, v62, v23 :: v_dual_add_f32 v54, v15, v12
	v_sub_f32_e32 v20, v46, v20
	v_dual_sub_f32 v56, v15, v12 :: v_dual_sub_f32 v15, v14, v15
	s_delay_alu instid0(VALU_DEP_3) | instskip(SKIP_3) | instid1(VALU_DEP_4)
	v_dual_add_f32 v16, v19, v13 :: v_dual_sub_f32 v23, v62, v23
	v_sub_f32_e32 v51, v19, v13
	v_sub_f32_e32 v53, v13, v22
	v_mul_f32_e32 v18, 0x3f4a47b2, v18
	v_add_f32_e32 v16, v22, v16
	v_sub_f32_e32 v19, v22, v19
	v_add_f32_e32 v22, v46, v50
	v_dual_sub_f32 v46, v12, v14 :: v_dual_add_f32 v13, v47, v23
	v_dual_add_f32 v14, v54, v14 :: v_dual_sub_f32 v55, v47, v23
	v_sub_f32_e32 v47, v17, v47
	v_dual_sub_f32 v23, v23, v17 :: v_dual_mul_f32 v54, 0x3f08b237, v56
	s_delay_alu instid0(VALU_DEP_4)
	v_dual_add_f32 v17, v13, v17 :: v_dual_add_f32 v12, v48, v16
	v_add_f32_e32 v13, v49, v22
	v_mul_f32_e32 v49, 0x3d64c772, v19
	v_mul_f32_e32 v48, 0x3f4a47b2, v53
	;; [unrolled: 1-line block ×3, first 2 shown]
	v_fmamk_f32 v20, v20, 0x3d64c772, v18
	v_fmamk_f32 v16, v16, 0xbf955555, v12
	v_fma_f32 v49, 0x3f3bfb3b, v51, -v49
	v_fmamk_f32 v22, v22, 0xbf955555, v13
	v_mul_f32_e32 v56, 0xbf5ff5aa, v46
	v_fma_f32 v50, 0x3f3bfb3b, v52, -v50
	v_fma_f32 v18, 0xbf3bfb3b, v52, -v18
	v_add_f32_e32 v49, v49, v16
	v_dual_fmamk_f32 v19, v19, 0x3d64c772, v48 :: v_dual_add_f32 v20, v20, v22
	v_mul_f32_e32 v53, 0x3f08b237, v55
	v_mul_f32_e32 v55, 0xbf5ff5aa, v23
	v_fma_f32 v48, 0xbf3bfb3b, v51, -v48
	v_fmamk_f32 v52, v15, 0xbeae86e6, v54
	v_fma_f32 v46, 0xbf5ff5aa, v46, -v54
	v_add_f32_e32 v54, v19, v16
	v_dual_fmamk_f32 v51, v47, 0xbeae86e6, v53 :: v_dual_add_f32 v50, v50, v22
	v_fma_f32 v47, 0x3eae86e6, v47, -v55
	v_fma_f32 v23, 0xbf5ff5aa, v23, -v53
	;; [unrolled: 1-line block ×3, first 2 shown]
	s_delay_alu instid0(VALU_DEP_4) | instskip(SKIP_1) | instid1(VALU_DEP_4)
	v_dual_add_f32 v48, v48, v16 :: v_dual_fmac_f32 v51, 0xbee1c552, v17
	v_add_f32_e32 v55, v18, v22
	v_dual_fmac_f32 v52, 0xbee1c552, v14 :: v_dual_fmac_f32 v23, 0xbee1c552, v17
	v_dual_fmac_f32 v47, 0xbee1c552, v17 :: v_dual_fmac_f32 v46, 0xbee1c552, v14
	v_fmac_f32_e32 v53, 0xbee1c552, v14
	s_delay_alu instid0(VALU_DEP_3) | instskip(NEXT) | instid1(VALU_DEP_4)
	v_add_f32_e32 v14, v52, v54
	v_add_f32_e32 v19, v23, v50
	s_delay_alu instid0(VALU_DEP_4) | instskip(NEXT) | instid1(VALU_DEP_4)
	v_dual_sub_f32 v17, v55, v47 :: v_dual_add_f32 v22, v46, v49
	v_dual_sub_f32 v15, v20, v51 :: v_dual_add_f32 v16, v53, v48
	v_dual_sub_f32 v18, v49, v46 :: v_dual_sub_f32 v23, v50, v23
	v_dual_sub_f32 v46, v48, v53 :: v_dual_add_f32 v47, v47, v55
	v_sub_f32_e32 v48, v54, v52
	v_add_f32_e32 v49, v51, v20
	ds_store_2addr_b64 v98, v[12:13], v[14:15] offset1:26
	ds_store_2addr_b64 v98, v[16:17], v[18:19] offset0:52 offset1:78
	ds_store_2addr_b64 v98, v[22:23], v[46:47] offset0:104 offset1:130
	ds_store_b64 v98, v[48:49] offset:1248
	s_and_saveexec_b32 s1, s0
	s_cbranch_execz .LBB0_21
; %bb.20:
	v_dual_mul_f32 v12, v3, v84 :: v_dual_mul_f32 v13, v1, v82
	v_dual_mul_f32 v14, v5, v43 :: v_dual_mul_f32 v15, v11, v78
	;; [unrolled: 1-line block ×3, first 2 shown]
	s_delay_alu instid0(VALU_DEP_3) | instskip(SKIP_1) | instid1(VALU_DEP_4)
	v_dual_fmac_f32 v12, v2, v83 :: v_dual_fmac_f32 v13, v0, v81
	v_dual_mul_f32 v18, v9, v65 :: v_dual_mul_f32 v7, v7, v44
	v_dual_mul_f32 v11, v11, v77 :: v_dual_fmac_f32 v14, v4, v42
	s_delay_alu instid0(VALU_DEP_2) | instskip(NEXT) | instid1(VALU_DEP_4)
	v_dual_fmac_f32 v15, v10, v77 :: v_dual_fmac_f32 v18, v8, v64
	v_dual_sub_f32 v17, v12, v13 :: v_dual_fmac_f32 v16, v6, v44
	v_mul_f32_e32 v1, v1, v81
	v_fma_f32 v6, v6, v45, -v7
	v_mul_f32_e32 v3, v3, v83
	v_fma_f32 v10, v10, v78, -v11
	v_fma_f32 v4, v4, v43, -v5
	;; [unrolled: 1-line block ×3, first 2 shown]
	v_dual_sub_f32 v11, v14, v15 :: v_dual_add_f32 v14, v15, v14
	v_fma_f32 v2, v2, v84, -v3
	s_delay_alu instid0(VALU_DEP_4) | instskip(NEXT) | instid1(VALU_DEP_3)
	v_add_f32_e32 v7, v10, v4
	v_dual_add_f32 v15, v18, v16 :: v_dual_sub_f32 v22, v11, v17
	s_delay_alu instid0(VALU_DEP_3) | instskip(SKIP_3) | instid1(VALU_DEP_4)
	v_dual_add_f32 v12, v13, v12 :: v_dual_add_f32 v1, v0, v2
	v_mul_f32_e32 v9, v9, v64
	v_sub_f32_e32 v2, v2, v0
	v_sub_f32_e32 v4, v4, v10
	;; [unrolled: 1-line block ×3, first 2 shown]
	s_delay_alu instid0(VALU_DEP_4) | instskip(NEXT) | instid1(VALU_DEP_2)
	v_fma_f32 v5, v8, v65, -v9
	v_mul_f32_e32 v20, 0x3f4a47b2, v20
	s_delay_alu instid0(VALU_DEP_2) | instskip(NEXT) | instid1(VALU_DEP_1)
	v_dual_add_f32 v8, v5, v6 :: v_dual_sub_f32 v5, v6, v5
	v_dual_sub_f32 v6, v12, v15 :: v_dual_sub_f32 v23, v1, v8
	v_sub_f32_e32 v9, v16, v18
	v_dual_add_f32 v3, v8, v7 :: v_dual_add_f32 v16, v15, v14
	v_sub_f32_e32 v18, v14, v12
	s_delay_alu instid0(VALU_DEP_3) | instskip(NEXT) | instid1(VALU_DEP_3)
	v_dual_fmamk_f32 v42, v23, 0x3d64c772, v20 :: v_dual_sub_f32 v19, v17, v9
	v_add_f32_e32 v3, v1, v3
	v_add_f32_e32 v17, v17, v9
	v_sub_f32_e32 v10, v2, v5
	s_delay_alu instid0(VALU_DEP_4) | instskip(NEXT) | instid1(VALU_DEP_4)
	v_dual_add_f32 v12, v12, v16 :: v_dual_mul_f32 v19, 0x3f08b237, v19
	v_add_f32_e32 v1, v41, v3
	s_delay_alu instid0(VALU_DEP_3) | instskip(SKIP_1) | instid1(VALU_DEP_4)
	v_dual_add_f32 v17, v17, v11 :: v_dual_mul_f32 v10, 0x3f08b237, v10
	v_sub_f32_e32 v9, v9, v11
	v_fmamk_f32 v41, v22, 0xbeae86e6, v19
	s_delay_alu instid0(VALU_DEP_4) | instskip(SKIP_1) | instid1(VALU_DEP_2)
	v_dual_fmamk_f32 v43, v3, 0xbf955555, v1 :: v_dual_add_f32 v0, v40, v12
	v_dual_sub_f32 v11, v4, v2 :: v_dual_add_f32 v2, v2, v5
	v_dual_fmac_f32 v41, 0xbee1c552, v17 :: v_dual_add_f32 v42, v42, v43
	v_mul_f32_e32 v16, 0x3f4a47b2, v18
	v_dual_mul_f32 v13, 0x3d64c772, v23 :: v_dual_mul_f32 v18, 0x3d64c772, v6
	s_delay_alu instid0(VALU_DEP_4)
	v_dual_sub_f32 v7, v8, v7 :: v_dual_add_f32 v2, v2, v4
	v_fmamk_f32 v40, v11, 0xbeae86e6, v10
	v_dual_mul_f32 v23, 0xbf5ff5aa, v9 :: v_dual_sub_f32 v14, v15, v14
	v_sub_f32_e32 v8, v5, v4
	v_dual_add_f32 v3, v41, v42 :: v_dual_fmamk_f32 v12, v12, 0xbf955555, v0
	v_fmamk_f32 v6, v6, 0x3d64c772, v16
	v_fma_f32 v5, 0xbf3bfb3b, v7, -v20
	s_delay_alu instid0(VALU_DEP_4)
	v_mul_f32_e32 v15, 0xbf5ff5aa, v8
	v_fma_f32 v4, 0xbf3bfb3b, v14, -v16
	v_fma_f32 v22, 0x3eae86e6, v22, -v23
	v_add_f32_e32 v16, v6, v12
	v_add_f32_e32 v20, v5, v43
	v_fma_f32 v15, 0x3eae86e6, v11, -v15
	v_fma_f32 v9, 0xbf5ff5aa, v9, -v19
	v_add_f32_e32 v6, v4, v12
	v_fma_f32 v4, 0x3f3bfb3b, v7, -v13
	v_fma_f32 v19, 0xbf5ff5aa, v8, -v10
	v_and_b32_e32 v7, 0xffff, v91
	v_fmac_f32_e32 v9, 0xbee1c552, v17
	v_dual_fmac_f32 v22, 0xbee1c552, v17 :: v_dual_fmac_f32 v15, 0xbee1c552, v2
	v_fmac_f32_e32 v40, 0xbee1c552, v2
	v_dual_add_f32 v10, v4, v43 :: v_dual_fmac_f32 v19, 0xbee1c552, v2
	v_mul_u32_u24_e32 v2, 0xb6, v7
	v_fma_f32 v8, 0x3f3bfb3b, v14, -v18
	v_add_f32_e32 v5, v22, v20
	v_sub_f32_e32 v13, v42, v41
	v_sub_f32_e32 v4, v6, v15
	v_add_nc_u32_e32 v2, v2, v90
	v_dual_add_f32 v14, v8, v12 :: v_dual_sub_f32 v7, v10, v9
	v_dual_add_f32 v12, v40, v16 :: v_dual_add_f32 v9, v9, v10
	s_delay_alu instid0(VALU_DEP_3) | instskip(NEXT) | instid1(VALU_DEP_3)
	v_lshl_add_u32 v17, v2, 3, v87
	v_dual_sub_f32 v8, v14, v19 :: v_dual_sub_f32 v11, v20, v22
	v_add_f32_e32 v10, v15, v6
	v_add_f32_e32 v6, v19, v14
	v_sub_f32_e32 v2, v16, v40
	ds_store_2addr_b64 v17, v[0:1], v[12:13] offset1:26
	ds_store_2addr_b64 v17, v[10:11], v[8:9] offset0:52 offset1:78
	ds_store_2addr_b64 v17, v[6:7], v[4:5] offset0:104 offset1:130
	ds_store_b64 v17, v[2:3] offset:1248
.LBB0_21:
	s_wait_alu 0xfffe
	s_or_b32 exec_lo, exec_lo, s1
	v_add_nc_u32_e32 v0, 0x400, v89
	global_wb scope:SCOPE_SE
	s_wait_dscnt 0x0
	s_barrier_signal -1
	s_barrier_wait -1
	global_inv scope:SCOPE_SE
	ds_load_2addr_b64 v[0:3], v0 offset0:54 offset1:145
	v_add_nc_u32_e32 v4, 0x800, v89
	v_add_nc_u32_e32 v8, 0x1000, v89
	s_wait_dscnt 0x0
	v_dual_mul_f32 v41, v37, v3 :: v_dual_add_nc_u32 v12, 0x1400, v89
	ds_load_2addr_b64 v[4:7], v4 offset0:108 offset1:199
	ds_load_2addr_b64 v[8:11], v8 offset0:34 offset1:125
	ds_load_2addr_b64 v[12:15], v12 offset0:88 offset1:179
	ds_load_2addr_b64 v[16:19], v89 offset1:91
	v_mul_f32_e32 v22, v29, v0
	v_mul_f32_e32 v37, v37, v2
	v_fmac_f32_e32 v41, v36, v2
	s_wait_dscnt 0x3
	v_mul_f32_e32 v23, v31, v5
	v_dual_mul_f32 v20, v29, v1 :: v_dual_mul_f32 v29, v31, v4
	s_wait_dscnt 0x2
	v_dual_mul_f32 v31, v33, v9 :: v_dual_mul_f32 v42, v39, v7
	s_wait_dscnt 0x1
	v_dual_mul_f32 v33, v33, v8 :: v_dual_mul_f32 v40, v35, v13
	v_mul_f32_e32 v35, v35, v12
	v_fmac_f32_e32 v23, v30, v4
	v_fmac_f32_e32 v20, v28, v0
	v_dual_fmac_f32 v31, v32, v8 :: v_dual_mul_f32 v0, v39, v6
	v_fma_f32 v22, v28, v1, -v22
	v_fma_f32 v28, v30, v5, -v29
	;; [unrolled: 1-line block ×3, first 2 shown]
	v_fmac_f32_e32 v40, v34, v12
	v_fma_f32 v12, v34, v13, -v35
	v_dual_fmac_f32 v42, v38, v6 :: v_dual_mul_f32 v13, v27, v15
	v_fma_f32 v32, v38, v7, -v0
	v_dual_add_f32 v0, v23, v31 :: v_dual_mul_f32 v1, v25, v10
	s_wait_dscnt 0x0
	v_dual_mul_f32 v33, v25, v11 :: v_dual_add_f32 v2, v16, v20
	v_fmac_f32_e32 v13, v26, v14
	v_fma_f32 v30, v36, v3, -v37
	v_fma_f32 v0, -0.5, v0, v16
	v_dual_sub_f32 v3, v22, v12 :: v_dual_sub_f32 v4, v20, v23
	v_fmac_f32_e32 v33, v24, v10
	v_fma_f32 v24, v24, v11, -v1
	v_dual_add_f32 v1, v2, v23 :: v_dual_mul_f32 v8, v27, v14
	v_sub_f32_e32 v6, v40, v31
	v_fmamk_f32 v2, v3, 0xbf737871, v0
	v_fmac_f32_e32 v0, 0x3f737871, v3
	v_dual_add_f32 v10, v17, v22 :: v_dual_add_f32 v11, v28, v29
	s_delay_alu instid0(VALU_DEP_4) | instskip(SKIP_4) | instid1(VALU_DEP_4)
	v_add_f32_e32 v9, v4, v6
	v_add_f32_e32 v1, v1, v31
	v_sub_f32_e32 v5, v28, v29
	v_fma_f32 v15, v26, v15, -v8
	v_dual_sub_f32 v14, v22, v28 :: v_dual_sub_f32 v25, v41, v13
	v_add_f32_e32 v6, v1, v40
	s_delay_alu instid0(VALU_DEP_4) | instskip(SKIP_2) | instid1(VALU_DEP_3)
	v_dual_add_f32 v7, v20, v40 :: v_dual_fmac_f32 v2, 0xbf167918, v5
	v_sub_f32_e32 v1, v23, v20
	v_sub_f32_e32 v27, v32, v30
	v_fma_f32 v4, -0.5, v7, v16
	v_dual_sub_f32 v7, v31, v40 :: v_dual_fmac_f32 v0, 0x3f167918, v5
	v_fmac_f32_e32 v2, 0x3e9e377a, v9
	s_delay_alu instid0(VALU_DEP_3) | instskip(NEXT) | instid1(VALU_DEP_3)
	v_fmamk_f32 v8, v5, 0x3f737871, v4
	v_dual_add_f32 v7, v1, v7 :: v_dual_fmac_f32 v4, 0xbf737871, v5
	v_add_f32_e32 v5, v10, v28
	v_fma_f32 v1, -0.5, v11, v17
	s_delay_alu instid0(VALU_DEP_4) | instskip(SKIP_1) | instid1(VALU_DEP_4)
	v_dual_sub_f32 v11, v20, v40 :: v_dual_fmac_f32 v8, 0xbf167918, v3
	v_fmac_f32_e32 v0, 0x3e9e377a, v9
	v_add_f32_e32 v9, v5, v29
	v_dual_add_f32 v5, v22, v12 :: v_dual_fmac_f32 v4, 0x3f167918, v3
	s_delay_alu instid0(VALU_DEP_4) | instskip(SKIP_2) | instid1(VALU_DEP_4)
	v_fmac_f32_e32 v8, 0x3e9e377a, v7
	v_dual_fmamk_f32 v3, v11, 0x3f737871, v1 :: v_dual_sub_f32 v16, v12, v29
	v_fmac_f32_e32 v1, 0xbf737871, v11
	v_fma_f32 v5, -0.5, v5, v17
	v_dual_fmac_f32 v4, 0x3e9e377a, v7 :: v_dual_add_f32 v17, v42, v33
	s_delay_alu instid0(VALU_DEP_4) | instskip(SKIP_3) | instid1(VALU_DEP_3)
	v_add_f32_e32 v14, v14, v16
	v_dual_sub_f32 v10, v23, v31 :: v_dual_add_f32 v7, v9, v12
	v_sub_f32_e32 v16, v28, v22
	v_sub_f32_e32 v20, v32, v24
	v_dual_sub_f32 v22, v13, v33 :: v_dual_fmac_f32 v3, 0x3f167918, v10
	s_delay_alu instid0(VALU_DEP_1) | instskip(SKIP_4) | instid1(VALU_DEP_4)
	v_fmac_f32_e32 v3, 0x3e9e377a, v14
	v_dual_fmamk_f32 v9, v10, 0xbf737871, v5 :: v_dual_sub_f32 v12, v29, v12
	v_fmac_f32_e32 v1, 0xbf167918, v10
	v_fmac_f32_e32 v5, 0x3f737871, v10
	v_fma_f32 v10, -0.5, v17, v18
	v_dual_fmac_f32 v9, 0x3f167918, v11 :: v_dual_add_f32 v16, v16, v12
	v_add_f32_e32 v12, v18, v41
	v_sub_f32_e32 v17, v30, v15
	v_fmac_f32_e32 v5, 0xbf167918, v11
	v_fmac_f32_e32 v1, 0x3e9e377a, v14
	v_dual_fmac_f32 v9, 0x3e9e377a, v16 :: v_dual_sub_f32 v14, v41, v42
	s_delay_alu instid0(VALU_DEP_4) | instskip(SKIP_1) | instid1(VALU_DEP_3)
	v_dual_add_f32 v11, v12, v42 :: v_dual_fmamk_f32 v12, v17, 0xbf737871, v10
	v_fmac_f32_e32 v10, 0x3f737871, v17
	v_dual_add_f32 v23, v41, v13 :: v_dual_add_f32 v22, v14, v22
	s_delay_alu instid0(VALU_DEP_3) | instskip(SKIP_1) | instid1(VALU_DEP_3)
	v_dual_add_f32 v11, v11, v33 :: v_dual_fmac_f32 v12, 0xbf167918, v20
	v_fmac_f32_e32 v5, 0x3e9e377a, v16
	v_fma_f32 v18, -0.5, v23, v18
	v_sub_f32_e32 v23, v33, v13
	s_delay_alu instid0(VALU_DEP_4) | instskip(SKIP_2) | instid1(VALU_DEP_3)
	v_dual_add_f32 v14, v11, v13 :: v_dual_add_f32 v11, v32, v24
	v_fmac_f32_e32 v10, 0x3f167918, v20
	v_fmac_f32_e32 v12, 0x3e9e377a, v22
	v_fma_f32 v11, -0.5, v11, v19
	s_delay_alu instid0(VALU_DEP_3) | instskip(SKIP_2) | instid1(VALU_DEP_4)
	v_fmac_f32_e32 v10, 0x3e9e377a, v22
	v_fmamk_f32 v16, v20, 0x3f737871, v18
	v_fmac_f32_e32 v18, 0xbf737871, v20
	v_dual_fmamk_f32 v13, v25, 0x3f737871, v11 :: v_dual_add_f32 v20, v19, v30
	v_sub_f32_e32 v22, v42, v41
	s_delay_alu instid0(VALU_DEP_4) | instskip(NEXT) | instid1(VALU_DEP_4)
	v_fmac_f32_e32 v16, 0xbf167918, v17
	v_fmac_f32_e32 v18, 0x3f167918, v17
	;; [unrolled: 1-line block ×3, first 2 shown]
	s_delay_alu instid0(VALU_DEP_4) | instskip(SKIP_2) | instid1(VALU_DEP_3)
	v_dual_add_f32 v17, v20, v32 :: v_dual_add_f32 v22, v22, v23
	v_sub_f32_e32 v23, v42, v33
	v_add_f32_e32 v20, v30, v15
	v_fmac_f32_e32 v18, 0x3e9e377a, v22
	s_delay_alu instid0(VALU_DEP_3) | instskip(NEXT) | instid1(VALU_DEP_3)
	v_fmac_f32_e32 v13, 0x3f167918, v23
	v_dual_fmac_f32 v19, -0.5, v20 :: v_dual_fmac_f32 v16, 0x3e9e377a, v22
	v_add_f32_e32 v22, v17, v24
	v_dual_sub_f32 v20, v30, v32 :: v_dual_fmac_f32 v11, 0xbf167918, v23
	s_delay_alu instid0(VALU_DEP_3) | instskip(SKIP_3) | instid1(VALU_DEP_4)
	v_fmamk_f32 v17, v23, 0xbf737871, v19
	v_dual_sub_f32 v26, v15, v24 :: v_dual_fmac_f32 v19, 0x3f737871, v23
	v_sub_f32_e32 v24, v24, v15
	v_add_f32_e32 v15, v22, v15
	v_fmac_f32_e32 v17, 0x3f167918, v25
	v_add_nc_u32_e32 v22, 0x400, v21
	v_fmac_f32_e32 v19, 0xbf167918, v25
	v_dual_add_f32 v23, v27, v24 :: v_dual_add_f32 v20, v20, v26
	v_add_nc_u32_e32 v21, 0x1000, v21
	s_delay_alu instid0(VALU_DEP_2) | instskip(NEXT) | instid1(VALU_DEP_3)
	v_fmac_f32_e32 v17, 0x3e9e377a, v23
	v_fmac_f32_e32 v13, 0x3e9e377a, v20
	;; [unrolled: 1-line block ×3, first 2 shown]
	v_add_nc_u32_e32 v20, 0xa00, v92
	v_fmac_f32_e32 v19, 0x3e9e377a, v23
	ds_store_b64 v92, v[6:7]
	ds_store_2addr_b64 v20, v[8:9], v[4:5] offset0:44 offset1:226
	ds_store_b64 v92, v[0:1] offset:5824
	ds_store_2addr_b64 v92, v[14:15], v[2:3] offset0:91 offset1:182
	ds_store_2addr_b64 v22, v[12:13], v[16:17] offset0:54 offset1:236
	;; [unrolled: 1-line block ×3, first 2 shown]
	global_wb scope:SCOPE_SE
	s_wait_dscnt 0x0
	s_barrier_signal -1
	s_barrier_wait -1
	global_inv scope:SCOPE_SE
	s_and_b32 exec_lo, exec_lo, vcc_lo
	s_cbranch_execz .LBB0_23
; %bb.22:
	s_clause 0xb
	global_load_b64 v[24:25], v85, s[8:9]
	global_load_b64 v[26:27], v85, s[8:9] offset:560
	global_load_b64 v[28:29], v85, s[8:9] offset:1120
	;; [unrolled: 1-line block ×11, first 2 shown]
	v_mad_co_u64_u32 v[12:13], null, s6, v66, 0
	v_mad_co_u64_u32 v[48:49], null, s4, v86, 0
	ds_load_b64 v[50:51], v92
	s_mov_b32 s2, 0x12012012
	s_mov_b32 s3, 0x3f520120
	v_dual_mov_b32 v0, v13 :: v_dual_add_nc_u32 v5, 0x400, v92
	s_mul_u64 s[0:1], s[4:5], 0x230
	v_mov_b32_e32 v4, v49
	v_add_nc_u32_e32 v16, 0x1000, v92
	s_delay_alu instid0(VALU_DEP_3)
	v_mad_co_u64_u32 v[8:9], null, s7, v66, v[0:1]
	v_add_nc_u32_e32 v9, 0x800, v92
	ds_load_2addr_b64 v[0:3], v92 offset0:70 offset1:140
	v_mad_co_u64_u32 v[14:15], null, s5, v86, v[4:5]
	ds_load_2addr_b64 v[4:7], v5 offset0:82 offset1:152
	v_add_nc_u32_e32 v15, 0xc00, v92
	v_mov_b32_e32 v13, v8
	ds_load_2addr_b64 v[8:11], v9 offset0:94 offset1:164
	v_dual_mov_b32 v49, v14 :: v_dual_add_nc_u32 v20, 0x1800, v92
	v_lshlrev_b64_e32 v[52:53], 3, v[12:13]
	s_delay_alu instid0(VALU_DEP_2) | instskip(NEXT) | instid1(VALU_DEP_2)
	v_lshlrev_b64_e32 v[48:49], 3, v[48:49]
	v_add_co_u32 v52, vcc_lo, s12, v52
	s_wait_alu 0xfffd
	s_delay_alu instid0(VALU_DEP_3) | instskip(NEXT) | instid1(VALU_DEP_2)
	v_add_co_ci_u32_e32 v53, vcc_lo, s13, v53, vcc_lo
	v_add_co_u32 v48, vcc_lo, v52, v48
	s_wait_alu 0xfffd
	s_delay_alu instid0(VALU_DEP_2) | instskip(SKIP_1) | instid1(VALU_DEP_2)
	v_add_co_ci_u32_e32 v49, vcc_lo, v53, v49, vcc_lo
	s_wait_alu 0xfffe
	v_add_co_u32 v52, vcc_lo, v48, s0
	s_wait_alu 0xfffd
	s_delay_alu instid0(VALU_DEP_2)
	v_add_co_ci_u32_e32 v53, vcc_lo, s1, v49, vcc_lo
	s_wait_loadcnt_dscnt 0xb03
	v_mul_f32_e32 v54, v51, v25
	ds_load_2addr_b64 v[12:15], v15 offset0:106 offset1:176
	ds_load_2addr_b64 v[16:19], v16 offset0:118 offset1:188
	;; [unrolled: 1-line block ×3, first 2 shown]
	v_mul_f32_e32 v25, v50, v25
	s_wait_loadcnt_dscnt 0x905
	v_dual_mul_f32 v55, v1, v27 :: v_dual_mul_f32 v56, v3, v29
	s_wait_loadcnt_dscnt 0x704
	v_dual_mul_f32 v27, v0, v27 :: v_dual_mul_f32 v58, v7, v33
	v_mul_f32_e32 v29, v2, v29
	s_wait_loadcnt_dscnt 0x503
	v_dual_mul_f32 v57, v5, v31 :: v_dual_mul_f32 v60, v11, v37
	v_mul_f32_e32 v31, v4, v31
	v_mul_f32_e32 v33, v6, v33
	v_mul_f32_e32 v59, v9, v35
	v_dual_mul_f32 v35, v8, v35 :: v_dual_fmac_f32 v54, v50, v24
	v_fma_f32 v24, v24, v51, -v25
	v_mul_f32_e32 v37, v10, v37
	v_fmac_f32_e32 v55, v0, v26
	v_fma_f32 v25, v26, v1, -v27
	s_wait_loadcnt_dscnt 0x402
	v_dual_mul_f32 v61, v13, v39 :: v_dual_fmac_f32 v56, v2, v28
	v_dual_mul_f32 v39, v12, v39 :: v_dual_fmac_f32 v58, v6, v32
	v_fma_f32 v26, v28, v3, -v29
	s_wait_loadcnt 0x3
	v_mul_f32_e32 v62, v15, v41
	v_mul_f32_e32 v41, v14, v41
	v_fmac_f32_e32 v57, v4, v30
	v_fma_f32 v27, v30, v5, -v31
	s_wait_loadcnt_dscnt 0x201
	v_dual_mul_f32 v63, v17, v43 :: v_dual_fmac_f32 v60, v10, v36
	v_dual_mul_f32 v43, v16, v43 :: v_dual_fmac_f32 v62, v14, v40
	s_wait_loadcnt 0x1
	v_mul_f32_e32 v64, v19, v45
	v_mul_f32_e32 v45, v18, v45
	v_fma_f32 v28, v32, v7, -v33
	s_wait_loadcnt_dscnt 0x0
	v_mul_f32_e32 v65, v21, v47
	v_mul_f32_e32 v47, v20, v47
	v_fmac_f32_e32 v59, v8, v34
	v_fma_f32 v29, v34, v9, -v35
	v_cvt_f64_f32_e32 v[0:1], v54
	v_cvt_f64_f32_e32 v[2:3], v24
	v_fma_f32 v30, v36, v11, -v37
	v_cvt_f64_f32_e32 v[4:5], v55
	v_cvt_f64_f32_e32 v[6:7], v25
	v_fmac_f32_e32 v61, v12, v38
	v_fma_f32 v32, v38, v13, -v39
	v_cvt_f64_f32_e32 v[8:9], v56
	v_cvt_f64_f32_e32 v[10:11], v26
	v_fma_f32 v36, v40, v15, -v41
	v_cvt_f64_f32_e32 v[12:13], v57
	v_cvt_f64_f32_e32 v[14:15], v27
	v_fmac_f32_e32 v63, v16, v42
	v_fma_f32 v40, v42, v17, -v43
	v_fmac_f32_e32 v64, v18, v44
	v_fma_f32 v44, v44, v19, -v45
	v_cvt_f64_f32_e32 v[16:17], v58
	v_cvt_f64_f32_e32 v[18:19], v28
	v_fmac_f32_e32 v65, v20, v46
	v_fma_f32 v50, v46, v21, -v47
	v_cvt_f64_f32_e32 v[20:21], v59
	v_cvt_f64_f32_e32 v[24:25], v29
	;; [unrolled: 1-line block ×14, first 2 shown]
	v_add_co_u32 v54, vcc_lo, v52, s0
	s_wait_alu 0xfffd
	v_add_co_ci_u32_e32 v55, vcc_lo, s1, v53, vcc_lo
	v_mul_f64_e32 v[0:1], s[2:3], v[0:1]
	v_mul_f64_e32 v[2:3], s[2:3], v[2:3]
	v_add_co_u32 v56, vcc_lo, v54, s0
	v_mul_f64_e32 v[4:5], s[2:3], v[4:5]
	v_mul_f64_e32 v[6:7], s[2:3], v[6:7]
	s_wait_alu 0xfffd
	v_add_co_ci_u32_e32 v57, vcc_lo, s1, v55, vcc_lo
	v_mul_f64_e32 v[8:9], s[2:3], v[8:9]
	v_mul_f64_e32 v[10:11], s[2:3], v[10:11]
	;; [unrolled: 1-line block ×4, first 2 shown]
	v_add_co_u32 v58, vcc_lo, v56, s0
	s_wait_alu 0xfffd
	v_add_co_ci_u32_e32 v59, vcc_lo, s1, v57, vcc_lo
	v_mul_f64_e32 v[16:17], s[2:3], v[16:17]
	v_mul_f64_e32 v[18:19], s[2:3], v[18:19]
	v_add_co_u32 v60, vcc_lo, v58, s0
	v_mul_f64_e32 v[20:21], s[2:3], v[20:21]
	v_mul_f64_e32 v[24:25], s[2:3], v[24:25]
	;; [unrolled: 1-line block ×14, first 2 shown]
	s_wait_alu 0xfffd
	v_add_co_ci_u32_e32 v61, vcc_lo, s1, v59, vcc_lo
	v_cvt_f32_f64_e32 v0, v[0:1]
	v_cvt_f32_f64_e32 v1, v[2:3]
	;; [unrolled: 1-line block ×24, first 2 shown]
	v_add_co_u32 v26, vcc_lo, v60, s0
	s_wait_alu 0xfffd
	v_add_co_ci_u32_e32 v27, vcc_lo, s1, v61, vcc_lo
	s_delay_alu instid0(VALU_DEP_2) | instskip(SKIP_1) | instid1(VALU_DEP_2)
	v_add_co_u32 v28, vcc_lo, v26, s0
	s_wait_alu 0xfffd
	v_add_co_ci_u32_e32 v29, vcc_lo, s1, v27, vcc_lo
	s_delay_alu instid0(VALU_DEP_2) | instskip(SKIP_1) | instid1(VALU_DEP_2)
	;; [unrolled: 4-line block ×5, first 2 shown]
	v_add_co_u32 v36, vcc_lo, v34, s0
	s_wait_alu 0xfffd
	v_add_co_ci_u32_e32 v37, vcc_lo, s1, v35, vcc_lo
	s_clause 0x4
	global_store_b64 v[48:49], v[0:1], off
	global_store_b64 v[52:53], v[2:3], off
	;; [unrolled: 1-line block ×12, first 2 shown]
	global_load_b64 v[0:1], v85, s[8:9] offset:6720
	s_wait_loadcnt 0x0
	v_mul_f32_e32 v2, v23, v1
	v_mul_f32_e32 v1, v22, v1
	s_delay_alu instid0(VALU_DEP_2) | instskip(NEXT) | instid1(VALU_DEP_2)
	v_fmac_f32_e32 v2, v22, v0
	v_fma_f32 v3, v0, v23, -v1
	s_delay_alu instid0(VALU_DEP_2) | instskip(NEXT) | instid1(VALU_DEP_2)
	v_cvt_f64_f32_e32 v[0:1], v2
	v_cvt_f64_f32_e32 v[2:3], v3
	s_delay_alu instid0(VALU_DEP_2) | instskip(NEXT) | instid1(VALU_DEP_2)
	v_mul_f64_e32 v[0:1], s[2:3], v[0:1]
	v_mul_f64_e32 v[2:3], s[2:3], v[2:3]
	s_delay_alu instid0(VALU_DEP_2) | instskip(NEXT) | instid1(VALU_DEP_2)
	v_cvt_f32_f64_e32 v0, v[0:1]
	v_cvt_f32_f64_e32 v1, v[2:3]
	v_add_co_u32 v2, vcc_lo, v36, s0
	s_wait_alu 0xfffd
	v_add_co_ci_u32_e32 v3, vcc_lo, s1, v37, vcc_lo
	global_store_b64 v[2:3], v[0:1], off
.LBB0_23:
	s_nop 0
	s_sendmsg sendmsg(MSG_DEALLOC_VGPRS)
	s_endpgm
	.section	.rodata,"a",@progbits
	.p2align	6, 0x0
	.amdhsa_kernel bluestein_single_back_len910_dim1_sp_op_CI_CI
		.amdhsa_group_segment_fixed_size 14560
		.amdhsa_private_segment_fixed_size 0
		.amdhsa_kernarg_size 104
		.amdhsa_user_sgpr_count 2
		.amdhsa_user_sgpr_dispatch_ptr 0
		.amdhsa_user_sgpr_queue_ptr 0
		.amdhsa_user_sgpr_kernarg_segment_ptr 1
		.amdhsa_user_sgpr_dispatch_id 0
		.amdhsa_user_sgpr_private_segment_size 0
		.amdhsa_wavefront_size32 1
		.amdhsa_uses_dynamic_stack 0
		.amdhsa_enable_private_segment 0
		.amdhsa_system_sgpr_workgroup_id_x 1
		.amdhsa_system_sgpr_workgroup_id_y 0
		.amdhsa_system_sgpr_workgroup_id_z 0
		.amdhsa_system_sgpr_workgroup_info 0
		.amdhsa_system_vgpr_workitem_id 0
		.amdhsa_next_free_vgpr 228
		.amdhsa_next_free_sgpr 14
		.amdhsa_reserve_vcc 1
		.amdhsa_float_round_mode_32 0
		.amdhsa_float_round_mode_16_64 0
		.amdhsa_float_denorm_mode_32 3
		.amdhsa_float_denorm_mode_16_64 3
		.amdhsa_fp16_overflow 0
		.amdhsa_workgroup_processor_mode 1
		.amdhsa_memory_ordered 1
		.amdhsa_forward_progress 0
		.amdhsa_round_robin_scheduling 0
		.amdhsa_exception_fp_ieee_invalid_op 0
		.amdhsa_exception_fp_denorm_src 0
		.amdhsa_exception_fp_ieee_div_zero 0
		.amdhsa_exception_fp_ieee_overflow 0
		.amdhsa_exception_fp_ieee_underflow 0
		.amdhsa_exception_fp_ieee_inexact 0
		.amdhsa_exception_int_div_zero 0
	.end_amdhsa_kernel
	.text
.Lfunc_end0:
	.size	bluestein_single_back_len910_dim1_sp_op_CI_CI, .Lfunc_end0-bluestein_single_back_len910_dim1_sp_op_CI_CI
                                        ; -- End function
	.section	.AMDGPU.csdata,"",@progbits
; Kernel info:
; codeLenInByte = 16740
; NumSgprs: 16
; NumVgprs: 228
; ScratchSize: 0
; MemoryBound: 0
; FloatMode: 240
; IeeeMode: 1
; LDSByteSize: 14560 bytes/workgroup (compile time only)
; SGPRBlocks: 1
; VGPRBlocks: 28
; NumSGPRsForWavesPerEU: 16
; NumVGPRsForWavesPerEU: 228
; Occupancy: 6
; WaveLimiterHint : 1
; COMPUTE_PGM_RSRC2:SCRATCH_EN: 0
; COMPUTE_PGM_RSRC2:USER_SGPR: 2
; COMPUTE_PGM_RSRC2:TRAP_HANDLER: 0
; COMPUTE_PGM_RSRC2:TGID_X_EN: 1
; COMPUTE_PGM_RSRC2:TGID_Y_EN: 0
; COMPUTE_PGM_RSRC2:TGID_Z_EN: 0
; COMPUTE_PGM_RSRC2:TIDIG_COMP_CNT: 0
	.text
	.p2alignl 7, 3214868480
	.fill 96, 4, 3214868480
	.type	__hip_cuid_efc005a9a9d1ad3a,@object ; @__hip_cuid_efc005a9a9d1ad3a
	.section	.bss,"aw",@nobits
	.globl	__hip_cuid_efc005a9a9d1ad3a
__hip_cuid_efc005a9a9d1ad3a:
	.byte	0                               ; 0x0
	.size	__hip_cuid_efc005a9a9d1ad3a, 1

	.ident	"AMD clang version 19.0.0git (https://github.com/RadeonOpenCompute/llvm-project roc-6.4.0 25133 c7fe45cf4b819c5991fe208aaa96edf142730f1d)"
	.section	".note.GNU-stack","",@progbits
	.addrsig
	.addrsig_sym __hip_cuid_efc005a9a9d1ad3a
	.amdgpu_metadata
---
amdhsa.kernels:
  - .args:
      - .actual_access:  read_only
        .address_space:  global
        .offset:         0
        .size:           8
        .value_kind:     global_buffer
      - .actual_access:  read_only
        .address_space:  global
        .offset:         8
        .size:           8
        .value_kind:     global_buffer
      - .actual_access:  read_only
        .address_space:  global
        .offset:         16
        .size:           8
        .value_kind:     global_buffer
      - .actual_access:  read_only
        .address_space:  global
        .offset:         24
        .size:           8
        .value_kind:     global_buffer
      - .actual_access:  read_only
        .address_space:  global
        .offset:         32
        .size:           8
        .value_kind:     global_buffer
      - .offset:         40
        .size:           8
        .value_kind:     by_value
      - .address_space:  global
        .offset:         48
        .size:           8
        .value_kind:     global_buffer
      - .address_space:  global
        .offset:         56
        .size:           8
        .value_kind:     global_buffer
      - .address_space:  global
        .offset:         64
        .size:           8
        .value_kind:     global_buffer
      - .address_space:  global
        .offset:         72
        .size:           8
        .value_kind:     global_buffer
      - .offset:         80
        .size:           4
        .value_kind:     by_value
      - .address_space:  global
        .offset:         88
        .size:           8
        .value_kind:     global_buffer
      - .address_space:  global
        .offset:         96
        .size:           8
        .value_kind:     global_buffer
    .group_segment_fixed_size: 14560
    .kernarg_segment_align: 8
    .kernarg_segment_size: 104
    .language:       OpenCL C
    .language_version:
      - 2
      - 0
    .max_flat_workgroup_size: 182
    .name:           bluestein_single_back_len910_dim1_sp_op_CI_CI
    .private_segment_fixed_size: 0
    .sgpr_count:     16
    .sgpr_spill_count: 0
    .symbol:         bluestein_single_back_len910_dim1_sp_op_CI_CI.kd
    .uniform_work_group_size: 1
    .uses_dynamic_stack: false
    .vgpr_count:     228
    .vgpr_spill_count: 0
    .wavefront_size: 32
    .workgroup_processor_mode: 1
amdhsa.target:   amdgcn-amd-amdhsa--gfx1201
amdhsa.version:
  - 1
  - 2
...

	.end_amdgpu_metadata
